;; amdgpu-corpus repo=ROCm/rocFFT kind=compiled arch=gfx1030 opt=O3
	.text
	.amdgcn_target "amdgcn-amd-amdhsa--gfx1030"
	.amdhsa_code_object_version 6
	.protected	bluestein_single_back_len325_dim1_dp_op_CI_CI ; -- Begin function bluestein_single_back_len325_dim1_dp_op_CI_CI
	.globl	bluestein_single_back_len325_dim1_dp_op_CI_CI
	.p2align	8
	.type	bluestein_single_back_len325_dim1_dp_op_CI_CI,@function
bluestein_single_back_len325_dim1_dp_op_CI_CI: ; @bluestein_single_back_len325_dim1_dp_op_CI_CI
; %bb.0:
	s_load_dwordx4 s[8:11], s[4:5], 0x28
	v_mul_u32_u24_e32 v1, 0x13b2, v0
	s_mov_b64 s[50:51], s[2:3]
	s_mov_b64 s[48:49], s[0:1]
	v_mov_b32_e32 v7, 0
	s_add_u32 s48, s48, s7
	v_lshrrev_b32_e32 v5, 16, v1
	s_addc_u32 s49, s49, 0
	s_mov_b32 s0, exec_lo
	v_lshl_add_u32 v6, s6, 2, v5
	s_waitcnt lgkmcnt(0)
	v_cmpx_gt_u64_e64 s[8:9], v[6:7]
	s_cbranch_execz .LBB0_15
; %bb.1:
	s_clause 0x1
	s_load_dwordx4 s[0:3], s[4:5], 0x18
	s_load_dwordx2 s[6:7], s[4:5], 0x0
	v_mul_lo_u16 v1, v5, 13
	v_mov_b32_e32 v7, v6
	v_sub_nc_u16 v2, v0, v1
	v_and_b32_e32 v214, 0xffff, v2
	v_lshlrev_b32_e32 v44, 4, v214
	s_waitcnt lgkmcnt(0)
	s_load_dwordx4 s[12:15], s[0:1], 0x0
	s_clause 0x3
	global_load_dwordx4 v[79:82], v44, s[6:7]
	global_load_dwordx4 v[83:86], v44, s[6:7] offset:400
	global_load_dwordx4 v[115:118], v44, s[6:7] offset:800
	;; [unrolled: 1-line block ×3, first 2 shown]
	v_add_co_u32 v9, s0, s6, v44
	v_add_co_ci_u32_e64 v10, null, s7, 0, s0
	buffer_store_dword v7, off, s[48:51], 0 offset:56 ; 4-byte Folded Spill
	buffer_store_dword v8, off, s[48:51], 0 offset:60 ; 4-byte Folded Spill
	v_add_co_u32 v53, vcc_lo, 0x800, v9
	v_add_co_ci_u32_e32 v54, vcc_lo, 0, v10, vcc_lo
	s_clause 0x1
	global_load_dwordx4 v[107:110], v44, s[6:7] offset:1600
	global_load_dwordx4 v[103:106], v44, s[6:7] offset:2000
	v_add_co_u32 v57, vcc_lo, 0x1000, v9
	buffer_store_dword v9, off, s[48:51], 0 offset:16 ; 4-byte Folded Spill
	buffer_store_dword v10, off, s[48:51], 0 offset:20 ; 4-byte Folded Spill
	s_clause 0x3
	global_load_dwordx4 v[131:134], v[53:54], off offset:352
	global_load_dwordx4 v[127:130], v[53:54], off offset:752
	;; [unrolled: 1-line block ×4, first 2 shown]
	s_waitcnt lgkmcnt(0)
	v_mad_u64_u32 v[0:1], null, s14, v6, 0
	v_mad_u64_u32 v[3:4], null, s12, v214, 0
	s_mul_i32 s1, s13, 25
	s_mul_hi_u32 s8, s12, 25
	s_mul_i32 s0, s12, 25
	s_add_i32 s1, s8, s1
	v_mad_u64_u32 v[6:7], null, s15, v6, v[1:2]
	v_mad_u64_u32 v[7:8], null, s13, v214, v[4:5]
	s_lshl_b64 s[16:17], s[0:1], 4
	v_and_b32_e32 v5, 3, v5
	v_mov_b32_e32 v1, v6
	v_mov_b32_e32 v4, v7
	v_mul_u32_u24_e32 v5, 0x145, v5
	v_lshlrev_b64 v[0:1], 4, v[0:1]
	v_lshlrev_b64 v[6:7], 4, v[3:4]
	v_lshlrev_b32_e32 v215, 4, v5
	v_add_nc_u32_e32 v164, v215, v44
	v_add_co_ci_u32_e32 v58, vcc_lo, 0, v10, vcc_lo
	v_add_co_u32 v3, vcc_lo, s10, v0
	v_add_co_ci_u32_e32 v4, vcc_lo, s11, v1, vcc_lo
	v_add_co_u32 v0, vcc_lo, v3, v6
	;; [unrolled: 2-line block ×4, first 2 shown]
	v_add_co_ci_u32_e32 v15, vcc_lo, s17, v11, vcc_lo
	s_clause 0x1
	global_load_dwordx4 v[6:9], v[0:1], off
	global_load_dwordx4 v[10:13], v[10:11], off
	v_add_co_u32 v18, vcc_lo, v14, s16
	v_add_co_ci_u32_e32 v19, vcc_lo, s17, v15, vcc_lo
	v_add_co_u32 v0, vcc_lo, v18, s16
	v_add_co_ci_u32_e32 v1, vcc_lo, s17, v19, vcc_lo
	s_clause 0x1
	global_load_dwordx4 v[14:17], v[14:15], off
	global_load_dwordx4 v[18:21], v[18:19], off
	v_add_co_u32 v26, vcc_lo, v0, s16
	v_add_co_ci_u32_e32 v27, vcc_lo, s17, v1, vcc_lo
	global_load_dwordx4 v[22:25], v[0:1], off
	v_add_co_u32 v0, vcc_lo, v26, s16
	v_add_co_ci_u32_e32 v1, vcc_lo, s17, v27, vcc_lo
	;; [unrolled: 3-line block ×6, first 2 shown]
	global_load_dwordx4 v[45:48], v[42:43], off
	v_add_co_u32 v42, vcc_lo, v0, s16
	global_load_dwordx4 v[49:52], v[0:1], off
	buffer_store_dword v53, off, s[48:51], 0 offset:24 ; 4-byte Folded Spill
	buffer_store_dword v54, off, s[48:51], 0 offset:28 ; 4-byte Folded Spill
	v_add_co_ci_u32_e32 v43, vcc_lo, s17, v1, vcc_lo
	v_add_co_u32 v0, vcc_lo, v42, s16
	s_clause 0x1
	global_load_dwordx4 v[139:142], v[53:54], off offset:1952
	global_load_dwordx4 v[135:138], v[57:58], off offset:304
	global_load_dwordx4 v[53:56], v[42:43], off
	buffer_store_dword v57, off, s[48:51], 0 offset:32 ; 4-byte Folded Spill
	buffer_store_dword v58, off, s[48:51], 0 offset:36 ; 4-byte Folded Spill
	v_add_co_ci_u32_e32 v1, vcc_lo, s17, v43, vcc_lo
	s_waitcnt vmcnt(13)
	v_mul_f64 v[42:43], v[8:9], v[81:82]
	v_mul_f64 v[61:62], v[6:7], v[81:82]
	s_waitcnt vmcnt(12)
	v_mul_f64 v[63:64], v[12:13], v[85:86]
	v_mul_f64 v[65:66], v[10:11], v[85:86]
	;; [unrolled: 3-line block ×6, first 2 shown]
	v_cmp_gt_u16_e32 vcc_lo, 12, v2
	v_or_b32_e32 v2, 0x120, v214
	global_load_dwordx4 v[143:146], v[57:58], off offset:704
	global_load_dwordx4 v[57:60], v[0:1], off
	v_fma_f64 v[5:6], v[6:7], v[79:80], v[42:43]
	buffer_store_dword v79, off, s[48:51], 0 offset:64 ; 4-byte Folded Spill
	buffer_store_dword v80, off, s[48:51], 0 offset:68 ; 4-byte Folded Spill
	;; [unrolled: 1-line block ×4, first 2 shown]
	v_mul_f64 v[42:43], v[28:29], v[105:106]
	v_mul_f64 v[81:82], v[34:35], v[129:130]
	s_waitcnt vmcnt(4)
	v_mul_f64 v[91:92], v[51:52], v[141:142]
	s_waitcnt vmcnt(2)
	v_mul_f64 v[95:96], v[55:56], v[137:138]
	v_fma_f64 v[45:46], v[45:46], v[119:120], v[87:88]
	v_mul_f64 v[93:94], v[49:50], v[141:142]
	v_mul_f64 v[97:98], v[53:54], v[137:138]
	v_fma_f64 v[49:50], v[49:50], v[139:140], v[91:92]
	v_fma_f64 v[53:54], v[53:54], v[135:136], v[95:96]
	v_fma_f64 v[7:8], v[8:9], v[79:80], -v[61:62]
	v_fma_f64 v[9:10], v[10:11], v[83:84], v[63:64]
	buffer_store_dword v83, off, s[48:51], 0 offset:112 ; 4-byte Folded Spill
	buffer_store_dword v84, off, s[48:51], 0 offset:116 ; 4-byte Folded Spill
	buffer_store_dword v85, off, s[48:51], 0 offset:120 ; 4-byte Folded Spill
	buffer_store_dword v86, off, s[48:51], 0 offset:124 ; 4-byte Folded Spill
	v_mul_f64 v[61:62], v[26:27], v[105:106]
	v_mul_f64 v[63:64], v[32:33], v[133:134]
	;; [unrolled: 1-line block ×3, first 2 shown]
	s_waitcnt vmcnt(0)
	v_mul_f64 v[99:100], v[59:60], v[145:146]
	v_mul_f64 v[85:86], v[38:39], v[125:126]
	;; [unrolled: 1-line block ×3, first 2 shown]
	v_fma_f64 v[57:58], v[57:58], v[143:144], v[99:100]
	v_fma_f64 v[11:12], v[12:13], v[83:84], -v[65:66]
	v_fma_f64 v[13:14], v[14:15], v[115:116], v[67:68]
	buffer_store_dword v115, off, s[48:51], 0 offset:128 ; 4-byte Folded Spill
	buffer_store_dword v116, off, s[48:51], 0 offset:132 ; 4-byte Folded Spill
	;; [unrolled: 1-line block ×4, first 2 shown]
	v_mul_f64 v[65:66], v[30:31], v[133:134]
	v_mul_f64 v[83:84], v[40:41], v[125:126]
	v_fma_f64 v[15:16], v[16:17], v[115:116], -v[69:70]
	v_fma_f64 v[17:18], v[18:19], v[111:112], v[71:72]
	buffer_store_dword v111, off, s[48:51], 0 offset:96 ; 4-byte Folded Spill
	buffer_store_dword v112, off, s[48:51], 0 offset:100 ; 4-byte Folded Spill
	buffer_store_dword v113, off, s[48:51], 0 offset:104 ; 4-byte Folded Spill
	buffer_store_dword v114, off, s[48:51], 0 offset:108 ; 4-byte Folded Spill
	v_fma_f64 v[19:20], v[20:21], v[111:112], -v[73:74]
	v_fma_f64 v[21:22], v[22:23], v[107:108], v[75:76]
	buffer_store_dword v107, off, s[48:51], 0 offset:80 ; 4-byte Folded Spill
	buffer_store_dword v108, off, s[48:51], 0 offset:84 ; 4-byte Folded Spill
	buffer_store_dword v109, off, s[48:51], 0 offset:88 ; 4-byte Folded Spill
	buffer_store_dword v110, off, s[48:51], 0 offset:92 ; 4-byte Folded Spill
	;; [unrolled: 6-line block ×6, first 2 shown]
	buffer_store_dword v119, off, s[48:51], 0 offset:144 ; 4-byte Folded Spill
	buffer_store_dword v120, off, s[48:51], 0 offset:148 ; 4-byte Folded Spill
	;; [unrolled: 1-line block ×16, first 2 shown]
	s_load_dwordx2 s[14:15], s[4:5], 0x38
	s_load_dwordx4 s[8:11], s[2:3], 0x0
	v_fma_f64 v[39:40], v[40:41], v[123:124], -v[85:86]
	v_fma_f64 v[47:48], v[47:48], v[119:120], -v[89:90]
	;; [unrolled: 1-line block ×5, first 2 shown]
	ds_write_b128 v164, v[5:8]
	ds_write_b128 v164, v[9:12] offset:400
	ds_write_b128 v164, v[13:16] offset:800
	;; [unrolled: 1-line block ×8, first 2 shown]
	buffer_store_dword v2, off, s[48:51], 0 offset:744 ; 4-byte Folded Spill
	ds_write_b128 v164, v[45:48] offset:3600
	ds_write_b128 v164, v[49:52] offset:4000
	;; [unrolled: 1-line block ×4, first 2 shown]
	s_and_saveexec_b32 s1, vcc_lo
	s_cbranch_execz .LBB0_3
; %bb.2:
	s_clause 0x1
	buffer_load_dword v29, off, s[48:51], 0 offset:16
	buffer_load_dword v30, off, s[48:51], 0 offset:20
	v_mad_u64_u32 v[0:1], null, 0xffffee10, s12, v[0:1]
	s_mul_i32 s0, s13, 0xffffee10
	v_or_b32_e32 v39, 0x120, v214
	s_sub_i32 s0, s0, s12
	s_waitcnt vmcnt(0)
	s_clause 0x1
	global_load_dwordx4 v[5:8], v[29:30], off offset:208
	global_load_dwordx4 v[9:12], v[29:30], off offset:608
	v_add_nc_u32_e32 v1, s0, v1
	v_add_co_u32 v25, s0, v0, s16
	v_mad_u64_u32 v[35:36], null, s12, v39, 0
	v_add_co_ci_u32_e64 v26, s0, s17, v1, s0
	v_add_co_u32 v33, s0, v25, s16
	s_clause 0x1
	global_load_dwordx4 v[13:16], v[29:30], off offset:1008
	global_load_dwordx4 v[17:20], v[29:30], off offset:1408
	v_add_co_ci_u32_e64 v34, s0, s17, v26, s0
	v_add_co_u32 v37, s0, v33, s16
	v_mov_b32_e32 v2, v36
	v_add_co_ci_u32_e64 v38, s0, s17, v34, s0
	v_add_co_u32 v41, s0, v37, s16
	global_load_dwordx4 v[21:24], v[0:1], off
	v_add_co_ci_u32_e64 v42, s0, s17, v38, s0
	v_add_co_u32 v57, s0, v41, s16
	v_mad_u64_u32 v[0:1], null, s13, v39, v[2:3]
	v_add_co_ci_u32_e64 v58, s0, s17, v42, s0
	v_add_co_u32 v69, s0, v57, s16
	global_load_dwordx4 v[25:28], v[25:26], off
	v_add_co_ci_u32_e64 v70, s0, s17, v58, s0
	v_add_co_u32 v73, s0, v69, s16
	v_mov_b32_e32 v36, v0
	v_add_co_ci_u32_e64 v74, s0, s17, v70, s0
	v_add_co_u32 v85, s0, v73, s16
	v_lshlrev_b64 v[0:1], 4, v[35:36]
	v_add_co_ci_u32_e64 v86, s0, s17, v74, s0
	v_add_co_u32 v89, s0, v85, s16
	global_load_dwordx4 v[29:32], v[29:30], off offset:1808
	v_add_co_ci_u32_e64 v90, s0, s17, v86, s0
	v_add_co_u32 v93, s0, v89, s16
	v_lshlrev_b32_e32 v43, 4, v39
	v_add_co_ci_u32_e64 v94, s0, s17, v90, s0
	v_add_co_u32 v53, s0, v3, v0
	global_load_dwordx4 v[33:36], v[33:34], off
	global_load_dwordx4 v[37:40], v[37:38], off
	v_add_co_ci_u32_e64 v54, s0, v4, v1, s0
	global_load_dwordx4 v[0:3], v[41:42], off
	s_clause 0x1
	buffer_load_dword v81, off, s[48:51], 0 offset:24
	buffer_load_dword v82, off, s[48:51], 0 offset:28
	v_mad_u64_u32 v[105:106], null, 0x320, s12, v[93:94]
	s_waitcnt vmcnt(0)
	s_clause 0x1
	global_load_dwordx4 v[45:48], v[81:82], off offset:160
	global_load_dwordx4 v[49:52], v43, s[6:7]
	global_load_dwordx4 v[53:56], v[53:54], off
	global_load_dwordx4 v[57:60], v[57:58], off
	v_mov_b32_e32 v4, v106
	s_clause 0x1
	global_load_dwordx4 v[61:64], v[81:82], off offset:560
	global_load_dwordx4 v[65:68], v[81:82], off offset:960
	global_load_dwordx4 v[69:72], v[69:70], off
	global_load_dwordx4 v[73:76], v[73:74], off
	s_clause 0x1
	global_load_dwordx4 v[77:80], v[81:82], off offset:1360
	global_load_dwordx4 v[81:84], v[81:82], off offset:1760
	global_load_dwordx4 v[85:88], v[85:86], off
	global_load_dwordx4 v[89:92], v[89:90], off
	;; [unrolled: 1-line block ×3, first 2 shown]
	v_mul_f64 v[109:110], v[27:28], v[11:12]
	v_mul_f64 v[11:12], v[25:26], v[11:12]
	v_mad_u64_u32 v[41:42], null, 0x320, s13, v[4:5]
	v_mul_f64 v[111:112], v[35:36], v[15:16]
	v_mul_f64 v[15:16], v[33:34], v[15:16]
	;; [unrolled: 1-line block ×6, first 2 shown]
	v_mov_b32_e32 v106, v41
	s_clause 0x1
	buffer_load_dword v41, off, s[48:51], 0 offset:32
	buffer_load_dword v42, off, s[48:51], 0 offset:36
	s_waitcnt vmcnt(0)
	s_clause 0x1
	global_load_dwordx4 v[97:100], v[41:42], off offset:112
	global_load_dwordx4 v[101:104], v[41:42], off offset:912
	global_load_dwordx4 v[105:108], v[105:106], off
	v_mul_f64 v[41:42], v[23:24], v[7:8]
	v_mul_f64 v[7:8], v[21:22], v[7:8]
	;; [unrolled: 1-line block ×8, first 2 shown]
	v_fma_f64 v[0:1], v[0:1], v[29:30], v[117:118]
	v_fma_f64 v[2:3], v[2:3], v[29:30], -v[31:32]
	v_fma_f64 v[19:20], v[21:22], v[5:6], v[41:42]
	v_fma_f64 v[21:22], v[23:24], v[5:6], -v[7:8]
	v_mul_f64 v[23:24], v[55:56], v[51:52]
	v_mul_f64 v[41:42], v[53:54], v[51:52]
	;; [unrolled: 1-line block ×4, first 2 shown]
	v_fma_f64 v[4:5], v[25:26], v[9:10], v[109:110]
	v_mul_f64 v[109:110], v[71:72], v[63:64]
	v_mul_f64 v[63:64], v[69:70], v[63:64]
	v_fma_f64 v[6:7], v[27:28], v[9:10], -v[11:12]
	v_fma_f64 v[8:9], v[33:34], v[13:14], v[111:112]
	v_fma_f64 v[10:11], v[35:36], v[13:14], -v[15:16]
	v_fma_f64 v[12:13], v[37:38], v[17:18], v[113:114]
	;; [unrolled: 2-line block ×4, first 2 shown]
	v_fma_f64 v[23:24], v[53:54], v[49:50], v[23:24]
	v_fma_f64 v[25:26], v[55:56], v[49:50], -v[41:42]
	v_fma_f64 v[27:28], v[57:58], v[45:46], v[51:52]
	v_fma_f64 v[29:30], v[59:60], v[45:46], -v[47:48]
	v_fma_f64 v[41:42], v[87:88], v[77:78], -v[79:80]
	v_fma_f64 v[31:32], v[69:70], v[61:62], v[109:110]
	v_fma_f64 v[33:34], v[71:72], v[61:62], -v[63:64]
	v_fma_f64 v[45:46], v[89:90], v[81:82], v[123:124]
	v_fma_f64 v[47:48], v[91:92], v[81:82], -v[83:84]
	s_waitcnt vmcnt(2)
	v_mul_f64 v[125:126], v[95:96], v[99:100]
	v_mul_f64 v[99:100], v[93:94], v[99:100]
	s_waitcnt vmcnt(0)
	v_mul_f64 v[127:128], v[107:108], v[103:104]
	v_mul_f64 v[103:104], v[105:106], v[103:104]
	v_fma_f64 v[49:50], v[93:94], v[97:98], v[125:126]
	v_fma_f64 v[51:52], v[95:96], v[97:98], -v[99:100]
	v_fma_f64 v[53:54], v[105:106], v[101:102], v[127:128]
	v_fma_f64 v[55:56], v[107:108], v[101:102], -v[103:104]
	ds_write_b128 v164, v[19:22] offset:208
	ds_write_b128 v164, v[4:7] offset:608
	;; [unrolled: 1-line block ×13, first 2 shown]
.LBB0_3:
	s_or_b32 exec_lo, exec_lo, s1
	s_waitcnt lgkmcnt(0)
	s_waitcnt_vscnt null, 0x0
	s_barrier
	buffer_gl0_inv
	ds_read_b128 v[0:3], v164
	ds_read_b128 v[108:111], v164 offset:400
	ds_read_b128 v[112:115], v164 offset:800
	;; [unrolled: 1-line block ×12, first 2 shown]
	s_load_dwordx2 s[0:1], s[4:5], 0x8
                                        ; implicit-def: $vgpr56_vgpr57
                                        ; implicit-def: $vgpr104_vgpr105
                                        ; implicit-def: $vgpr100_vgpr101
                                        ; implicit-def: $vgpr96_vgpr97
                                        ; implicit-def: $vgpr92_vgpr93
                                        ; implicit-def: $vgpr88_vgpr89
                                        ; implicit-def: $vgpr84_vgpr85
                                        ; implicit-def: $vgpr80_vgpr81
                                        ; implicit-def: $vgpr76_vgpr77
                                        ; implicit-def: $vgpr72_vgpr73
                                        ; implicit-def: $vgpr68_vgpr69
                                        ; implicit-def: $vgpr64_vgpr65
                                        ; implicit-def: $vgpr60_vgpr61
	s_and_saveexec_b32 s2, vcc_lo
	s_cbranch_execz .LBB0_5
; %bb.4:
	ds_read_b128 v[56:59], v164 offset:208
	ds_read_b128 v[104:107], v164 offset:608
	;; [unrolled: 1-line block ×13, first 2 shown]
.LBB0_5:
	s_or_b32 exec_lo, exec_lo, s2
	s_waitcnt lgkmcnt(0)
	v_add_f64 v[4:5], v[0:1], v[108:109]
	v_add_f64 v[6:7], v[2:3], v[110:111]
	v_add_f64 v[36:37], v[110:111], -v[54:55]
	s_mov_b32 s2, 0x4267c47c
	s_mov_b32 s4, 0x42a4c3d2
	;; [unrolled: 1-line block ×12, first 2 shown]
	v_add_f64 v[32:33], v[116:117], v[124:125]
	v_add_f64 v[34:35], v[118:119], v[126:127]
	v_add_f64 v[38:39], v[116:117], -v[124:125]
	v_add_f64 v[40:41], v[118:119], -v[126:127]
	v_add_f64 v[42:43], v[112:113], v[120:121]
	v_add_f64 v[45:46], v[114:115], v[122:123]
	v_add_f64 v[47:48], v[112:113], -v[120:121]
	v_add_f64 v[4:5], v[4:5], v[112:113]
	v_add_f64 v[6:7], v[6:7], v[114:115]
	v_add_f64 v[49:50], v[114:115], -v[122:123]
	v_add_f64 v[112:113], v[108:109], v[52:53]
	v_add_f64 v[108:109], v[108:109], -v[52:53]
	v_mul_f64 v[114:115], v[36:37], s[2:3]
	s_mov_b32 s12, 0xe00740e9
	s_mov_b32 s18, 0x1ea71119
	;; [unrolled: 1-line block ×12, first 2 shown]
	v_add_f64 v[20:21], v[134:135], -v[142:143]
	v_add_f64 v[22:23], v[132:133], -v[140:141]
	v_add_f64 v[14:15], v[132:133], v[140:141]
	v_add_f64 v[12:13], v[134:135], v[142:143]
	;; [unrolled: 1-line block ×4, first 2 shown]
	v_mul_f64 v[116:117], v[36:37], s[4:5]
	v_mul_f64 v[118:119], v[36:37], s[24:25]
	v_add_f64 v[24:25], v[128:129], v[136:137]
	v_add_f64 v[26:27], v[130:131], v[138:139]
	v_add_f64 v[28:29], v[128:129], -v[136:137]
	v_add_f64 v[30:31], v[130:131], -v[138:139]
	v_add_f64 v[110:111], v[110:111], v[54:55]
	v_add_f64 v[16:17], v[146:147], -v[150:151]
	v_add_f64 v[18:19], v[144:145], -v[148:149]
	v_add_f64 v[8:9], v[144:145], v[148:149]
	v_add_f64 v[10:11], v[146:147], v[150:151]
	s_mov_b32 s37, 0x3fe5384d
	s_mov_b32 s36, s22
	;; [unrolled: 1-line block ×5, first 2 shown]
	v_mul_f64 v[180:181], v[20:21], s[40:41]
	v_mul_f64 v[182:183], v[22:23], s[40:41]
	s_mov_b32 s38, s2
	s_mov_b32 s43, 0x3fedeba7
	v_add_f64 v[4:5], v[4:5], v[128:129]
	v_add_f64 v[6:7], v[6:7], v[130:131]
	s_mov_b32 s42, s16
	v_mul_f64 v[167:168], v[20:21], s[4:5]
	v_mul_f64 v[172:173], v[22:23], s[4:5]
	s_mov_b32 s47, 0x3fcea1e5
	v_mul_f64 v[178:179], v[28:29], s[36:37]
	v_mul_f64 v[162:163], v[30:31], s[38:39]
	;; [unrolled: 1-line block ×8, first 2 shown]
	s_mov_b32 s46, s30
	s_mov_b32 s45, 0x3fea55e2
	v_mul_f64 v[194:195], v[20:21], s[46:47]
	v_mul_f64 v[196:197], v[22:23], s[46:47]
	s_mov_b32 s44, s4
	v_mul_f64 v[200:201], v[40:41], s[4:5]
	v_mul_f64 v[198:199], v[16:17], s[44:45]
	;; [unrolled: 1-line block ×3, first 2 shown]
	v_add_f64 v[4:5], v[4:5], v[132:133]
	v_add_f64 v[6:7], v[6:7], v[134:135]
	v_mul_f64 v[132:133], v[108:109], s[4:5]
	v_mul_f64 v[134:135], v[108:109], s[24:25]
	;; [unrolled: 1-line block ×8, first 2 shown]
	v_add_f64 v[4:5], v[4:5], v[144:145]
	v_add_f64 v[6:7], v[6:7], v[146:147]
	v_fma_f64 v[144:145], v[110:111], s[28:29], v[134:135]
	v_fma_f64 v[134:135], v[110:111], s[28:29], -v[134:135]
	v_add_f64 v[4:5], v[4:5], v[148:149]
	v_add_f64 v[6:7], v[6:7], v[150:151]
	;; [unrolled: 1-line block ×6, first 2 shown]
	v_fma_f64 v[142:143], v[110:111], s[18:19], v[132:133]
	v_fma_f64 v[132:133], v[110:111], s[18:19], -v[132:133]
	v_add_f64 v[4:5], v[4:5], v[136:137]
	v_add_f64 v[6:7], v[6:7], v[138:139]
	v_mul_f64 v[136:137], v[108:109], s[16:17]
	v_mul_f64 v[138:139], v[108:109], s[22:23]
	v_add_f64 v[174:175], v[2:3], v[132:133]
	v_add_f64 v[4:5], v[4:5], v[124:125]
	;; [unrolled: 1-line block ×3, first 2 shown]
	v_fma_f64 v[124:125], v[112:113], s[28:29], -v[118:119]
	v_fma_f64 v[118:119], v[112:113], s[28:29], v[118:119]
	v_fma_f64 v[146:147], v[110:111], s[26:27], v[136:137]
	v_fma_f64 v[136:137], v[110:111], s[26:27], -v[136:137]
	v_fma_f64 v[148:149], v[110:111], s[20:21], v[138:139]
	v_fma_f64 v[138:139], v[110:111], s[20:21], -v[138:139]
	v_add_f64 v[4:5], v[4:5], v[120:121]
	v_add_f64 v[6:7], v[6:7], v[122:123]
	v_mul_f64 v[120:121], v[36:37], s[16:17]
	v_fma_f64 v[122:123], v[112:113], s[18:19], -v[116:117]
	v_fma_f64 v[116:117], v[112:113], s[18:19], v[116:117]
	v_add_f64 v[124:125], v[0:1], v[124:125]
	v_add_f64 v[118:119], v[0:1], v[118:119]
	;; [unrolled: 1-line block ×6, first 2 shown]
	v_mul_f64 v[136:137], v[40:41], s[24:25]
	v_mul_f64 v[138:139], v[38:39], s[24:25]
	;; [unrolled: 1-line block ×6, first 2 shown]
	v_add_f64 v[4:5], v[4:5], v[52:53]
	v_mul_f64 v[51:52], v[36:37], s[22:23]
	v_mul_f64 v[36:37], v[36:37], s[30:31]
	v_add_f64 v[6:7], v[6:7], v[54:55]
	v_fma_f64 v[53:54], v[112:113], s[12:13], -v[114:115]
	v_fma_f64 v[114:115], v[112:113], s[12:13], v[114:115]
	v_fma_f64 v[126:127], v[112:113], s[26:27], -v[120:121]
	v_fma_f64 v[120:121], v[112:113], s[26:27], v[120:121]
	v_add_f64 v[122:123], v[0:1], v[122:123]
	v_add_f64 v[116:117], v[0:1], v[116:117]
	v_fma_f64 v[128:129], v[112:113], s[20:21], -v[51:52]
	v_fma_f64 v[51:52], v[112:113], s[20:21], v[51:52]
	v_fma_f64 v[130:131], v[112:113], s[34:35], -v[36:37]
	v_fma_f64 v[36:37], v[112:113], s[34:35], v[36:37]
	v_mul_f64 v[112:113], v[108:109], s[2:3]
	v_mul_f64 v[108:109], v[108:109], s[30:31]
	v_add_f64 v[53:54], v[0:1], v[53:54]
	v_add_f64 v[114:115], v[0:1], v[114:115]
	;; [unrolled: 1-line block ×8, first 2 shown]
	v_fma_f64 v[140:141], v[110:111], s[12:13], v[112:113]
	v_fma_f64 v[112:113], v[110:111], s[12:13], -v[112:113]
	v_fma_f64 v[150:151], v[110:111], s[34:35], v[108:109]
	v_fma_f64 v[108:109], v[110:111], s[34:35], -v[108:109]
	v_mul_f64 v[36:37], v[49:50], s[4:5]
	v_add_f64 v[110:111], v[2:3], v[140:141]
	v_add_f64 v[112:113], v[2:3], v[112:113]
	;; [unrolled: 1-line block ×5, first 2 shown]
	v_fma_f64 v[108:109], v[42:43], s[18:19], -v[36:37]
	v_mul_f64 v[142:143], v[30:31], s[16:17]
	v_mul_f64 v[150:151], v[22:23], s[22:23]
	v_fma_f64 v[36:37], v[42:43], s[18:19], v[36:37]
	v_mul_f64 v[22:23], v[22:23], s[16:17]
	v_add_f64 v[53:54], v[108:109], v[53:54]
	v_mul_f64 v[108:109], v[47:48], s[4:5]
	v_add_f64 v[36:37], v[36:37], v[114:115]
	v_fma_f64 v[132:133], v[45:46], s[18:19], v[108:109]
	v_fma_f64 v[108:109], v[45:46], s[18:19], -v[108:109]
	v_add_f64 v[110:111], v[132:133], v[110:111]
	v_fma_f64 v[132:133], v[32:33], s[28:29], -v[136:137]
	v_add_f64 v[108:109], v[108:109], v[112:113]
	v_mul_f64 v[112:113], v[40:41], s[30:31]
	v_add_f64 v[53:54], v[132:133], v[53:54]
	v_fma_f64 v[132:133], v[34:35], s[28:29], v[138:139]
	v_fma_f64 v[114:115], v[32:33], s[34:35], -v[112:113]
	v_add_f64 v[110:111], v[132:133], v[110:111]
	v_fma_f64 v[132:133], v[24:25], s[26:27], -v[142:143]
	v_add_f64 v[53:54], v[132:133], v[53:54]
	v_fma_f64 v[132:133], v[26:27], s[26:27], v[146:147]
	v_add_f64 v[110:111], v[132:133], v[110:111]
	v_fma_f64 v[132:133], v[14:15], s[20:21], -v[148:149]
	v_add_f64 v[53:54], v[132:133], v[53:54]
	v_fma_f64 v[132:133], v[12:13], s[20:21], v[150:151]
	v_add_f64 v[110:111], v[132:133], v[110:111]
	v_fma_f64 v[132:133], v[8:9], s[34:35], -v[158:159]
	v_add_f64 v[132:133], v[132:133], v[53:54]
	v_mul_f64 v[53:54], v[18:19], s[30:31]
	v_fma_f64 v[134:135], v[10:11], s[34:35], v[53:54]
	v_fma_f64 v[53:54], v[10:11], s[34:35], -v[53:54]
	v_add_f64 v[134:135], v[134:135], v[110:111]
	v_fma_f64 v[110:111], v[32:33], s[28:29], v[136:137]
	v_add_f64 v[36:37], v[110:111], v[36:37]
	v_fma_f64 v[110:111], v[34:35], s[28:29], -v[138:139]
	v_add_f64 v[108:109], v[110:111], v[108:109]
	v_fma_f64 v[110:111], v[24:25], s[26:27], v[142:143]
	v_add_f64 v[36:37], v[110:111], v[36:37]
	v_fma_f64 v[110:111], v[26:27], s[26:27], -v[146:147]
	v_add_f64 v[108:109], v[110:111], v[108:109]
	v_fma_f64 v[110:111], v[14:15], s[20:21], v[148:149]
	v_mul_f64 v[148:149], v[47:48], s[30:31]
	v_add_f64 v[36:37], v[110:111], v[36:37]
	v_fma_f64 v[110:111], v[12:13], s[20:21], -v[150:151]
	v_mul_f64 v[150:151], v[40:41], s[42:43]
	v_add_f64 v[108:109], v[110:111], v[108:109]
	v_fma_f64 v[110:111], v[8:9], s[34:35], v[158:159]
	v_mul_f64 v[158:159], v[38:39], s[42:43]
	v_add_f64 v[138:139], v[53:54], v[108:109]
	v_add_f64 v[136:137], v[110:111], v[36:37]
	v_mul_f64 v[36:37], v[49:50], s[16:17]
	v_mul_f64 v[108:109], v[47:48], s[16:17]
	v_fma_f64 v[53:54], v[42:43], s[26:27], -v[36:37]
	v_fma_f64 v[110:111], v[45:46], s[26:27], v[108:109]
	v_add_f64 v[53:54], v[53:54], v[122:123]
	v_add_f64 v[110:111], v[110:111], v[140:141]
	;; [unrolled: 1-line block ×3, first 2 shown]
	v_mul_f64 v[114:115], v[38:39], s[30:31]
	v_fma_f64 v[122:123], v[34:35], s[34:35], v[114:115]
	v_add_f64 v[110:111], v[122:123], v[110:111]
	v_mul_f64 v[122:123], v[30:31], s[36:37]
	v_mul_f64 v[30:31], v[30:31], s[44:45]
	v_fma_f64 v[140:141], v[24:25], s[20:21], -v[122:123]
	v_add_f64 v[53:54], v[140:141], v[53:54]
	v_fma_f64 v[140:141], v[26:27], s[20:21], v[178:179]
	v_add_f64 v[110:111], v[140:141], v[110:111]
	v_fma_f64 v[140:141], v[14:15], s[28:29], -v[180:181]
	v_add_f64 v[53:54], v[140:141], v[53:54]
	v_fma_f64 v[140:141], v[12:13], s[28:29], v[182:183]
	v_add_f64 v[110:111], v[140:141], v[110:111]
	v_fma_f64 v[140:141], v[8:9], s[12:13], -v[184:185]
	v_add_f64 v[140:141], v[140:141], v[53:54]
	v_mul_f64 v[53:54], v[18:19], s[38:39]
	v_fma_f64 v[142:143], v[10:11], s[12:13], v[53:54]
	v_add_f64 v[142:143], v[142:143], v[110:111]
	v_mul_f64 v[110:111], v[49:50], s[30:31]
	v_fma_f64 v[146:147], v[42:43], s[34:35], -v[110:111]
	v_fma_f64 v[110:111], v[42:43], s[34:35], v[110:111]
	v_add_f64 v[124:125], v[146:147], v[124:125]
	v_fma_f64 v[146:147], v[45:46], s[34:35], v[148:149]
	v_add_f64 v[110:111], v[110:111], v[118:119]
	v_fma_f64 v[118:119], v[45:46], s[34:35], -v[148:149]
	v_fma_f64 v[148:149], v[32:33], s[26:27], v[150:151]
	v_add_f64 v[144:145], v[146:147], v[144:145]
	v_fma_f64 v[146:147], v[32:33], s[26:27], -v[150:151]
	v_add_f64 v[118:119], v[118:119], v[152:153]
	v_add_f64 v[110:111], v[148:149], v[110:111]
	v_fma_f64 v[148:149], v[34:35], s[26:27], -v[158:159]
	v_add_f64 v[124:125], v[146:147], v[124:125]
	v_fma_f64 v[146:147], v[34:35], s[26:27], v[158:159]
	v_add_f64 v[118:119], v[148:149], v[118:119]
	v_fma_f64 v[148:149], v[24:25], s[12:13], v[162:163]
	v_add_f64 v[144:145], v[146:147], v[144:145]
	v_fma_f64 v[146:147], v[24:25], s[12:13], -v[162:163]
	v_add_f64 v[110:111], v[148:149], v[110:111]
	v_fma_f64 v[148:149], v[26:27], s[12:13], -v[165:166]
	v_add_f64 v[124:125], v[146:147], v[124:125]
	v_fma_f64 v[146:147], v[26:27], s[12:13], v[165:166]
	v_add_f64 v[118:119], v[148:149], v[118:119]
	v_fma_f64 v[148:149], v[14:15], s[18:19], v[167:168]
	v_add_f64 v[144:145], v[146:147], v[144:145]
	v_fma_f64 v[146:147], v[14:15], s[18:19], -v[167:168]
	v_add_f64 v[110:111], v[148:149], v[110:111]
	v_fma_f64 v[148:149], v[12:13], s[18:19], -v[172:173]
	v_add_f64 v[124:125], v[146:147], v[124:125]
	v_fma_f64 v[146:147], v[12:13], s[18:19], v[172:173]
	v_mul_f64 v[172:173], v[47:48], s[40:41]
	v_add_f64 v[118:119], v[148:149], v[118:119]
	v_fma_f64 v[148:149], v[8:9], s[20:21], v[186:187]
	v_add_f64 v[146:147], v[146:147], v[144:145]
	v_fma_f64 v[144:145], v[8:9], s[20:21], -v[186:187]
	v_mul_f64 v[186:187], v[40:41], s[38:39]
	v_add_f64 v[148:149], v[148:149], v[110:111]
	v_mul_f64 v[110:111], v[49:50], s[36:37]
	v_mul_f64 v[40:41], v[40:41], s[22:23]
	v_add_f64 v[144:145], v[144:145], v[124:125]
	v_mul_f64 v[124:125], v[18:19], s[22:23]
	v_fma_f64 v[152:153], v[32:33], s[12:13], -v[186:187]
	v_fma_f64 v[188:189], v[10:11], s[20:21], v[124:125]
	v_fma_f64 v[124:125], v[10:11], s[20:21], -v[124:125]
	v_add_f64 v[146:147], v[188:189], v[146:147]
	v_add_f64 v[150:151], v[124:125], v[118:119]
	v_fma_f64 v[118:119], v[42:43], s[20:21], -v[110:111]
	v_mul_f64 v[124:125], v[47:48], s[36:37]
	v_mul_f64 v[188:189], v[38:39], s[38:39]
	;; [unrolled: 1-line block ×4, first 2 shown]
	v_add_f64 v[118:119], v[118:119], v[126:127]
	v_fma_f64 v[126:127], v[45:46], s[20:21], v[124:125]
	v_add_f64 v[118:119], v[152:153], v[118:119]
	v_add_f64 v[126:127], v[126:127], v[154:155]
	v_fma_f64 v[152:153], v[34:35], s[12:13], v[188:189]
	v_add_f64 v[126:127], v[152:153], v[126:127]
	v_fma_f64 v[152:153], v[24:25], s[28:29], -v[190:191]
	v_add_f64 v[118:119], v[152:153], v[118:119]
	v_fma_f64 v[152:153], v[26:27], s[28:29], v[192:193]
	v_add_f64 v[126:127], v[152:153], v[126:127]
	v_fma_f64 v[152:153], v[14:15], s[34:35], -v[194:195]
	;; [unrolled: 4-line block ×3, first 2 shown]
	v_add_f64 v[152:153], v[152:153], v[118:119]
	v_mul_f64 v[118:119], v[18:19], s[44:45]
	v_fma_f64 v[154:155], v[10:11], s[18:19], v[118:119]
	v_add_f64 v[154:155], v[154:155], v[126:127]
	v_mul_f64 v[126:127], v[49:50], s[40:41]
	v_mul_f64 v[49:50], v[49:50], s[38:39]
	v_fma_f64 v[158:159], v[42:43], s[28:29], -v[126:127]
	v_add_f64 v[128:129], v[158:159], v[128:129]
	v_fma_f64 v[158:159], v[45:46], s[28:29], v[172:173]
	v_add_f64 v[156:157], v[158:159], v[156:157]
	v_fma_f64 v[158:159], v[32:33], s[18:19], -v[200:201]
	v_add_f64 v[128:129], v[158:159], v[128:129]
	v_fma_f64 v[158:159], v[34:35], s[18:19], v[202:203]
	v_add_f64 v[156:157], v[158:159], v[156:157]
	;; [unrolled: 4-line block ×4, first 2 shown]
	v_fma_f64 v[156:157], v[8:9], s[26:27], -v[212:213]
	v_add_f64 v[156:157], v[156:157], v[128:129]
	v_mul_f64 v[128:129], v[18:19], s[16:17]
	v_mul_f64 v[18:19], v[18:19], s[40:41]
	v_fma_f64 v[162:163], v[10:11], s[26:27], v[128:129]
	v_add_f64 v[158:159], v[162:163], v[158:159]
	v_fma_f64 v[162:163], v[42:43], s[12:13], -v[49:50]
	v_fma_f64 v[49:50], v[42:43], s[12:13], v[49:50]
	v_add_f64 v[130:131], v[162:163], v[130:131]
	v_fma_f64 v[162:163], v[45:46], s[12:13], v[47:48]
	v_add_f64 v[0:1], v[49:50], v[0:1]
	v_fma_f64 v[47:48], v[45:46], s[12:13], -v[47:48]
	v_add_f64 v[160:161], v[162:163], v[160:161]
	v_fma_f64 v[162:163], v[32:33], s[20:21], -v[40:41]
	v_fma_f64 v[40:41], v[32:33], s[20:21], v[40:41]
	v_add_f64 v[2:3], v[47:48], v[2:3]
	v_add_f64 v[130:131], v[162:163], v[130:131]
	v_fma_f64 v[162:163], v[34:35], s[20:21], v[38:39]
	v_add_f64 v[0:1], v[40:41], v[0:1]
	v_fma_f64 v[38:39], v[34:35], s[20:21], -v[38:39]
	v_add_f64 v[40:41], v[102:103], -v[66:67]
	v_add_f64 v[160:161], v[162:163], v[160:161]
	v_fma_f64 v[162:163], v[24:25], s[18:19], -v[30:31]
	v_fma_f64 v[30:31], v[24:25], s[18:19], v[30:31]
	v_add_f64 v[2:3], v[38:39], v[2:3]
	v_mul_f64 v[48:49], v[40:41], s[4:5]
	v_add_f64 v[38:39], v[98:99], v[70:71]
	v_add_f64 v[130:131], v[162:163], v[130:131]
	v_fma_f64 v[162:163], v[26:27], s[18:19], v[28:29]
	v_add_f64 v[0:1], v[30:31], v[0:1]
	v_fma_f64 v[28:29], v[26:27], s[18:19], -v[28:29]
	v_add_f64 v[30:31], v[90:91], v[78:79]
	v_add_f64 v[160:161], v[162:163], v[160:161]
	v_fma_f64 v[162:163], v[14:15], s[26:27], -v[20:21]
	v_fma_f64 v[20:21], v[14:15], s[26:27], v[20:21]
	v_add_f64 v[2:3], v[28:29], v[2:3]
	v_fma_f64 v[28:29], v[14:15], s[34:35], v[194:195]
	v_add_f64 v[130:131], v[162:163], v[130:131]
	;; [unrolled: 2-line block ×3, first 2 shown]
	v_fma_f64 v[20:21], v[12:13], s[26:27], -v[22:23]
	v_fma_f64 v[22:23], v[34:35], s[34:35], -v[114:115]
	v_add_f64 v[162:163], v[162:163], v[160:161]
	v_fma_f64 v[160:161], v[8:9], s[28:29], -v[16:17]
	v_fma_f64 v[16:17], v[8:9], s[28:29], v[16:17]
	v_add_f64 v[2:3], v[20:21], v[2:3]
	v_fma_f64 v[20:21], v[26:27], s[28:29], -v[192:193]
	v_add_f64 v[160:161], v[160:161], v[130:131]
	v_fma_f64 v[130:131], v[10:11], s[28:29], v[18:19]
	v_fma_f64 v[18:19], v[10:11], s[28:29], -v[18:19]
	v_add_f64 v[166:167], v[16:17], v[0:1]
	v_fma_f64 v[0:1], v[42:43], s[28:29], v[126:127]
	v_fma_f64 v[16:17], v[32:33], s[18:19], v[200:201]
	v_add_f64 v[162:163], v[130:131], v[162:163]
	v_add_f64 v[168:169], v[18:19], v[2:3]
	v_fma_f64 v[2:3], v[45:46], s[28:29], -v[172:173]
	v_add_f64 v[0:1], v[0:1], v[51:52]
	v_fma_f64 v[18:19], v[10:11], s[26:27], -v[128:129]
	v_add_f64 v[128:129], v[106:107], -v[62:63]
	v_add_f64 v[130:131], v[106:107], v[62:63]
	v_add_f64 v[2:3], v[2:3], v[170:171]
	;; [unrolled: 1-line block ×3, first 2 shown]
	v_fma_f64 v[16:17], v[34:35], s[18:19], -v[202:203]
	v_add_f64 v[2:3], v[16:17], v[2:3]
	v_fma_f64 v[16:17], v[24:25], s[34:35], v[204:205]
	v_add_f64 v[0:1], v[16:17], v[0:1]
	v_fma_f64 v[16:17], v[26:27], s[34:35], -v[206:207]
	v_add_f64 v[2:3], v[16:17], v[2:3]
	v_fma_f64 v[16:17], v[14:15], s[12:13], v[208:209]
	v_fma_f64 v[14:15], v[14:15], s[28:29], v[180:181]
	v_add_f64 v[0:1], v[16:17], v[0:1]
	v_fma_f64 v[16:17], v[12:13], s[12:13], -v[210:211]
	v_add_f64 v[2:3], v[16:17], v[2:3]
	v_fma_f64 v[16:17], v[8:9], s[26:27], v[212:213]
	v_add_f64 v[172:173], v[18:19], v[2:3]
	v_add_f64 v[170:171], v[16:17], v[0:1]
	v_fma_f64 v[0:1], v[42:43], s[20:21], v[110:111]
	v_fma_f64 v[2:3], v[45:46], s[20:21], -v[124:125]
	v_fma_f64 v[16:17], v[32:33], s[12:13], v[186:187]
	v_fma_f64 v[18:19], v[45:46], s[26:27], -v[108:109]
	v_add_f64 v[110:111], v[104:105], v[60:61]
	v_add_f64 v[124:125], v[104:105], -v[60:61]
	v_add_f64 v[0:1], v[0:1], v[120:121]
	v_add_f64 v[2:3], v[2:3], v[176:177]
	;; [unrolled: 1-line block ×3, first 2 shown]
	v_mul_f64 v[126:127], v[124:125], s[2:3]
	v_add_f64 v[0:1], v[16:17], v[0:1]
	v_fma_f64 v[16:17], v[34:35], s[12:13], -v[188:189]
	v_add_f64 v[34:35], v[94:95], v[74:75]
	v_add_f64 v[18:19], v[22:23], v[18:19]
	v_fma_f64 v[22:23], v[26:27], s[20:21], -v[178:179]
	v_add_f64 v[26:27], v[96:97], -v[68:69]
	v_add_f64 v[2:3], v[16:17], v[2:3]
	v_fma_f64 v[16:17], v[24:25], s[28:29], v[190:191]
	v_add_f64 v[18:19], v[22:23], v[18:19]
	v_fma_f64 v[22:23], v[10:11], s[18:19], -v[118:119]
	v_mul_f64 v[118:119], v[128:129], s[2:3]
	v_fma_f64 v[10:11], v[10:11], s[12:13], -v[53:54]
	v_add_f64 v[2:3], v[20:21], v[2:3]
	v_add_f64 v[0:1], v[16:17], v[0:1]
	v_fma_f64 v[16:17], v[42:43], s[26:27], v[36:37]
	v_fma_f64 v[20:21], v[32:33], s[34:35], v[112:113]
	v_add_f64 v[42:43], v[102:103], v[66:67]
	v_add_f64 v[36:37], v[98:99], -v[70:71]
	v_mul_f64 v[112:113], v[26:27], s[24:25]
	v_add_f64 v[32:33], v[94:95], -v[74:75]
	v_add_f64 v[0:1], v[28:29], v[0:1]
	v_add_f64 v[16:17], v[16:17], v[116:117]
	v_add_f64 v[28:29], v[100:101], -v[64:65]
	v_mul_f64 v[50:51], v[36:37], s[24:25]
	v_mul_f64 v[54:55], v[32:33], s[16:17]
	v_add_f64 v[16:17], v[20:21], v[16:17]
	v_fma_f64 v[20:21], v[24:25], s[20:21], v[122:123]
	v_fma_f64 v[24:25], v[12:13], s[34:35], -v[196:197]
	v_fma_f64 v[12:13], v[12:13], s[28:29], -v[182:183]
	v_mul_f64 v[52:53], v[28:29], s[4:5]
	v_add_f64 v[16:17], v[20:21], v[16:17]
	v_add_f64 v[2:3], v[24:25], v[2:3]
	v_fma_f64 v[20:21], v[8:9], s[18:19], v[198:199]
	v_fma_f64 v[8:9], v[8:9], s[12:13], v[184:185]
	v_add_f64 v[24:25], v[90:91], -v[78:79]
	v_add_f64 v[176:177], v[22:23], v[2:3]
	v_add_f64 v[174:175], v[20:21], v[0:1]
	;; [unrolled: 1-line block ×4, first 2 shown]
	v_fma_f64 v[12:13], v[110:111], s[12:13], v[118:119]
	v_add_f64 v[18:19], v[100:101], v[64:65]
	v_add_f64 v[22:23], v[96:97], v[68:69]
	v_add_f64 v[14:15], v[92:93], -v[72:73]
	v_mul_f64 v[108:109], v[24:25], s[22:23]
	v_add_f64 v[16:17], v[86:87], -v[82:83]
	v_add_f64 v[178:179], v[8:9], v[0:1]
	v_add_f64 v[180:181], v[10:11], v[2:3]
	;; [unrolled: 1-line block ×3, first 2 shown]
	v_fma_f64 v[2:3], v[18:19], s[18:19], v[48:49]
	v_fma_f64 v[8:9], v[42:43], s[18:19], -v[52:53]
	v_add_f64 v[12:13], v[92:93], v[72:73]
	v_mul_f64 v[116:117], v[14:15], s[16:17]
	v_mul_f64 v[114:115], v[16:17], s[30:31]
	v_add_f64 v[0:1], v[2:3], v[0:1]
	v_fma_f64 v[2:3], v[130:131], s[12:13], -v[126:127]
	v_add_f64 v[2:3], v[58:59], v[2:3]
	v_add_f64 v[2:3], v[8:9], v[2:3]
	v_fma_f64 v[8:9], v[22:23], s[28:29], v[50:51]
	v_add_f64 v[0:1], v[8:9], v[0:1]
	v_fma_f64 v[8:9], v[38:39], s[28:29], -v[112:113]
	v_add_f64 v[2:3], v[8:9], v[2:3]
	v_fma_f64 v[8:9], v[12:13], s[26:27], v[54:55]
	v_add_f64 v[0:1], v[8:9], v[0:1]
	v_fma_f64 v[8:9], v[34:35], s[26:27], -v[116:117]
	v_add_f64 v[2:3], v[8:9], v[2:3]
	v_add_f64 v[8:9], v[88:89], v[76:77]
	v_fma_f64 v[10:11], v[8:9], s[20:21], v[108:109]
	v_add_f64 v[20:21], v[10:11], v[0:1]
	v_add_f64 v[10:11], v[88:89], -v[76:77]
	v_mul_f64 v[120:121], v[10:11], s[22:23]
	v_fma_f64 v[0:1], v[30:31], s[20:21], -v[120:121]
	v_add_f64 v[45:46], v[0:1], v[2:3]
	v_add_f64 v[0:1], v[84:85], v[80:81]
	v_fma_f64 v[2:3], v[0:1], s[34:35], v[114:115]
	v_add_f64 v[184:185], v[2:3], v[20:21]
	v_add_f64 v[2:3], v[84:85], -v[80:81]
	v_add_f64 v[20:21], v[86:87], v[82:83]
	v_mul_f64 v[122:123], v[2:3], s[30:31]
	v_fma_f64 v[182:183], v[20:21], s[34:35], -v[122:123]
	v_add_f64 v[186:187], v[182:183], v[45:46]
	v_mov_b32_e32 v182, v214
	buffer_store_dword v184, off, s[48:51], 0 ; 4-byte Folded Spill
	buffer_store_dword v185, off, s[48:51], 0 offset:4 ; 4-byte Folded Spill
	buffer_store_dword v186, off, s[48:51], 0 offset:8 ; 4-byte Folded Spill
	buffer_store_dword v187, off, s[48:51], 0 offset:12 ; 4-byte Folded Spill
	v_mul_lo_u16 v45, v182, 13
	s_waitcnt_vscnt null, 0x0
	s_barrier
	buffer_gl0_inv
	v_and_b32_e32 v45, 0xffff, v45
	v_lshl_add_u32 v165, v45, 4, v215
	v_add_co_u32 v45, null, v182, 13
	ds_write_b128 v165, v[4:7]
	ds_write_b128 v165, v[132:135] offset:16
	ds_write_b128 v165, v[140:143] offset:32
	;; [unrolled: 1-line block ×12, first 2 shown]
	v_mul_u32_u24_e32 v4, 13, v45
	buffer_store_dword v4, off, s[48:51], 0 offset:748 ; 4-byte Folded Spill
	s_and_saveexec_b32 s33, vcc_lo
	s_cbranch_execz .LBB0_7
; %bb.6:
	v_add_f64 v[4:5], v[58:59], v[106:107]
	v_add_f64 v[6:7], v[56:57], v[104:105]
	v_mul_f64 v[46:47], v[130:131], s[12:13]
	v_mul_f64 v[106:107], v[38:39], s[28:29]
	v_add_f64 v[4:5], v[4:5], v[102:103]
	v_add_f64 v[6:7], v[6:7], v[100:101]
	;; [unrolled: 1-line block ×4, first 2 shown]
	v_mul_f64 v[112:113], v[40:41], s[38:39]
	v_add_f64 v[4:5], v[4:5], v[98:99]
	v_add_f64 v[6:7], v[6:7], v[96:97]
	;; [unrolled: 1-line block ×7, first 2 shown]
	v_mul_f64 v[88:89], v[42:43], s[18:19]
	v_mul_f64 v[90:91], v[18:19], s[18:19]
	v_add_f64 v[4:5], v[4:5], v[86:87]
	v_add_f64 v[6:7], v[6:7], v[84:85]
	v_mul_f64 v[84:85], v[128:129], s[24:25]
	v_mul_f64 v[86:87], v[128:129], s[4:5]
	v_add_f64 v[52:53], v[52:53], v[88:89]
	v_add_f64 v[48:49], v[90:91], -v[48:49]
	v_mul_f64 v[90:91], v[30:31], s[20:21]
	v_mul_f64 v[88:89], v[12:13], s[26:27]
	v_add_f64 v[4:5], v[4:5], v[82:83]
	v_add_f64 v[6:7], v[6:7], v[80:81]
	v_mul_f64 v[80:81], v[110:111], s[12:13]
	v_mul_f64 v[82:83], v[130:131], s[18:19]
	v_fma_f64 v[102:103], v[110:111], s[18:19], -v[86:87]
	v_fma_f64 v[104:105], v[110:111], s[28:29], -v[84:85]
	v_fma_f64 v[84:85], v[110:111], s[28:29], v[84:85]
	v_fma_f64 v[86:87], v[110:111], s[18:19], v[86:87]
	v_add_f64 v[46:47], v[52:53], v[46:47]
	v_add_f64 v[90:91], v[120:121], v[90:91]
	v_add_f64 v[54:55], v[88:89], -v[54:55]
	v_mul_f64 v[88:89], v[20:21], s[34:35]
	v_add_f64 v[4:5], v[4:5], v[78:79]
	v_add_f64 v[6:7], v[6:7], v[76:77]
	v_mul_f64 v[76:77], v[128:129], s[22:23]
	v_mul_f64 v[78:79], v[130:131], s[28:29]
	v_add_f64 v[80:81], v[80:81], -v[118:119]
	v_add_f64 v[102:103], v[56:57], v[102:103]
	v_add_f64 v[104:105], v[56:57], v[104:105]
	;; [unrolled: 1-line block ×3, first 2 shown]
	v_fma_f64 v[118:119], v[18:19], s[12:13], v[112:113]
	v_fma_f64 v[112:113], v[18:19], s[12:13], -v[112:113]
	v_add_f64 v[46:47], v[106:107], v[46:47]
	v_add_f64 v[88:89], v[122:123], v[88:89]
	;; [unrolled: 1-line block ×4, first 2 shown]
	v_mul_f64 v[72:73], v[128:129], s[30:31]
	v_mul_f64 v[74:75], v[130:131], s[26:27]
	v_fma_f64 v[100:101], v[110:111], s[20:21], v[76:77]
	v_fma_f64 v[76:77], v[110:111], s[20:21], -v[76:77]
	v_add_f64 v[80:81], v[56:57], v[80:81]
	v_add_f64 v[4:5], v[4:5], v[70:71]
	;; [unrolled: 1-line block ×3, first 2 shown]
	v_mul_f64 v[68:69], v[130:131], s[34:35]
	v_mul_f64 v[70:71], v[130:131], s[20:21]
	v_fma_f64 v[96:97], v[110:111], s[34:35], v[72:73]
	v_fma_f64 v[72:73], v[110:111], s[34:35], -v[72:73]
	v_fma_f64 v[98:99], v[124:125], s[42:43], v[74:75]
	v_add_f64 v[100:101], v[56:57], v[100:101]
	v_add_f64 v[76:77], v[56:57], v[76:77]
	;; [unrolled: 1-line block ×5, first 2 shown]
	v_mul_f64 v[66:67], v[128:129], s[16:17]
	v_fma_f64 v[92:93], v[124:125], s[46:47], v[68:69]
	v_fma_f64 v[68:69], v[124:125], s[30:31], v[68:69]
	;; [unrolled: 1-line block ×4, first 2 shown]
	v_add_f64 v[96:97], v[56:57], v[96:97]
	v_add_f64 v[72:73], v[56:57], v[72:73]
	;; [unrolled: 1-line block ×5, first 2 shown]
	v_fma_f64 v[60:61], v[110:111], s[26:27], v[66:67]
	v_fma_f64 v[62:63], v[124:125], s[16:17], v[74:75]
	v_fma_f64 v[64:65], v[110:111], s[26:27], -v[66:67]
	v_fma_f64 v[66:67], v[124:125], s[40:41], v[78:79]
	v_fma_f64 v[74:75], v[124:125], s[24:25], v[78:79]
	;; [unrolled: 1-line block ×4, first 2 shown]
	v_add_f64 v[92:93], v[58:59], v[92:93]
	v_add_f64 v[68:69], v[58:59], v[68:69]
	;; [unrolled: 1-line block ×4, first 2 shown]
	v_mul_f64 v[110:111], v[42:43], s[12:13]
	v_add_f64 v[96:97], v[118:119], v[96:97]
	v_add_f64 v[72:73], v[112:113], v[72:73]
	v_mul_f64 v[112:113], v[42:43], s[26:27]
	v_add_f64 v[60:61], v[56:57], v[60:61]
	v_add_f64 v[62:63], v[58:59], v[62:63]
	;; [unrolled: 1-line block ×8, first 2 shown]
	v_mul_f64 v[82:83], v[22:23], s[28:29]
	v_mul_f64 v[86:87], v[34:35], s[26:27]
	v_fma_f64 v[52:53], v[28:29], s[16:17], v[112:113]
	v_add_f64 v[50:51], v[82:83], -v[50:51]
	v_mul_f64 v[82:83], v[8:9], s[20:21]
	v_add_f64 v[86:87], v[116:117], v[86:87]
	v_mul_f64 v[116:117], v[0:1], s[34:35]
	v_add_f64 v[52:53], v[52:53], v[78:79]
	v_add_f64 v[48:49], v[50:51], v[48:49]
	v_add_f64 v[82:83], v[82:83], -v[108:109]
	v_fma_f64 v[108:109], v[28:29], s[2:3], v[110:111]
	v_add_f64 v[114:115], v[116:117], -v[114:115]
	v_mul_f64 v[116:117], v[42:43], s[28:29]
	v_fma_f64 v[110:111], v[28:29], s[38:39], v[110:111]
	v_add_f64 v[46:47], v[86:87], v[46:47]
	v_mul_f64 v[86:87], v[34:35], s[20:21]
	v_add_f64 v[48:49], v[54:55], v[48:49]
	v_add_f64 v[92:93], v[108:109], v[92:93]
	v_mul_f64 v[108:109], v[40:41], s[40:41]
	v_fma_f64 v[118:119], v[28:29], s[24:25], v[116:117]
	v_add_f64 v[68:69], v[110:111], v[68:69]
	v_fma_f64 v[116:117], v[28:29], s[40:41], v[116:117]
	v_fma_f64 v[54:55], v[14:15], s[36:37], v[86:87]
	v_add_f64 v[46:47], v[90:91], v[46:47]
	v_add_f64 v[48:49], v[82:83], v[48:49]
	v_mul_f64 v[82:83], v[30:31], s[28:29]
	v_fma_f64 v[110:111], v[18:19], s[28:29], v[108:109]
	v_add_f64 v[94:95], v[118:119], v[94:95]
	v_mul_f64 v[118:119], v[40:41], s[16:17]
	v_fma_f64 v[108:109], v[18:19], s[28:29], -v[108:109]
	v_add_f64 v[70:71], v[116:117], v[70:71]
	v_mul_f64 v[116:117], v[36:37], s[22:23]
	v_fma_f64 v[90:91], v[10:11], s[40:41], v[82:83]
	v_add_f64 v[100:101], v[110:111], v[100:101]
	v_mul_f64 v[110:111], v[42:43], s[34:35]
	v_fma_f64 v[80:81], v[18:19], s[26:27], -v[118:119]
	v_mul_f64 v[42:43], v[42:43], s[20:21]
	v_add_f64 v[76:77], v[108:109], v[76:77]
	v_fma_f64 v[78:79], v[28:29], s[30:31], v[110:111]
	v_add_f64 v[80:81], v[80:81], v[102:103]
	v_mul_f64 v[102:103], v[40:41], s[30:31]
	v_mul_f64 v[40:41], v[40:41], s[36:37]
	v_add_f64 v[74:75], v[78:79], v[74:75]
	v_fma_f64 v[78:79], v[18:19], s[34:35], -v[102:103]
	v_add_f64 v[78:79], v[78:79], v[104:105]
	v_fma_f64 v[104:105], v[28:29], s[36:37], v[42:43]
	v_fma_f64 v[42:43], v[28:29], s[22:23], v[42:43]
	v_add_f64 v[62:63], v[104:105], v[62:63]
	v_fma_f64 v[104:105], v[18:19], s[20:21], -v[40:41]
	v_add_f64 v[42:43], v[42:43], v[98:99]
	v_fma_f64 v[98:99], v[22:23], s[20:21], v[116:117]
	v_fma_f64 v[116:117], v[22:23], s[20:21], -v[116:117]
	v_fma_f64 v[40:41], v[18:19], s[20:21], v[40:41]
	v_add_f64 v[64:65], v[104:105], v[64:65]
	v_mul_f64 v[104:105], v[38:39], s[20:21]
	v_add_f64 v[96:97], v[98:99], v[96:97]
	v_mul_f64 v[98:99], v[36:37], s[4:5]
	v_add_f64 v[72:73], v[116:117], v[72:73]
	v_add_f64 v[40:41], v[40:41], v[60:61]
	v_mul_f64 v[60:61], v[20:21], s[28:29]
	v_fma_f64 v[108:109], v[26:27], s[36:37], v[104:105]
	v_fma_f64 v[104:105], v[26:27], s[22:23], v[104:105]
	;; [unrolled: 1-line block ×3, first 2 shown]
	v_fma_f64 v[98:99], v[22:23], s[18:19], -v[98:99]
	v_add_f64 v[92:93], v[108:109], v[92:93]
	v_mul_f64 v[108:109], v[38:39], s[18:19]
	v_add_f64 v[68:69], v[104:105], v[68:69]
	v_add_f64 v[100:101], v[116:117], v[100:101]
	v_mul_f64 v[116:117], v[36:37], s[30:31]
	v_add_f64 v[76:77], v[98:99], v[76:77]
	v_fma_f64 v[104:105], v[26:27], s[44:45], v[108:109]
	v_fma_f64 v[108:109], v[26:27], s[4:5], v[108:109]
	v_fma_f64 v[50:51], v[22:23], s[34:35], -v[116:117]
	v_add_f64 v[94:95], v[104:105], v[94:95]
	v_mul_f64 v[104:105], v[38:39], s[34:35]
	v_add_f64 v[70:71], v[108:109], v[70:71]
	v_add_f64 v[50:51], v[50:51], v[80:81]
	v_mul_f64 v[108:109], v[34:35], s[18:19]
	v_fma_f64 v[106:107], v[26:27], s[30:31], v[104:105]
	v_fma_f64 v[98:99], v[14:15], s[4:5], v[108:109]
	v_fma_f64 v[108:109], v[14:15], s[44:45], v[108:109]
	v_add_f64 v[52:53], v[106:107], v[52:53]
	v_mul_f64 v[106:107], v[38:39], s[26:27]
	v_mul_f64 v[38:39], v[38:39], s[12:13]
	v_add_f64 v[92:93], v[98:99], v[92:93]
	v_mul_f64 v[98:99], v[32:33], s[44:45]
	v_add_f64 v[68:69], v[108:109], v[68:69]
	;; [unrolled: 2-line block ×3, first 2 shown]
	v_fma_f64 v[80:81], v[26:27], s[42:43], v[106:107]
	v_mul_f64 v[54:55], v[32:33], s[36:37]
	v_fma_f64 v[106:107], v[26:27], s[16:17], v[106:107]
	v_add_f64 v[52:53], v[90:91], v[52:53]
	v_add_f64 v[74:75], v[80:81], v[74:75]
	v_mul_f64 v[80:81], v[36:37], s[42:43]
	v_mul_f64 v[36:37], v[36:37], s[38:39]
	;; [unrolled: 1-line block ×3, first 2 shown]
	v_fma_f64 v[120:121], v[22:23], s[26:27], -v[80:81]
	v_fma_f64 v[80:81], v[22:23], s[26:27], v[80:81]
	v_add_f64 v[78:79], v[120:121], v[78:79]
	v_fma_f64 v[120:121], v[26:27], s[38:39], v[38:39]
	v_fma_f64 v[38:39], v[26:27], s[2:3], v[38:39]
	;; [unrolled: 1-line block ×5, first 2 shown]
	v_add_f64 v[62:63], v[120:121], v[62:63]
	v_fma_f64 v[120:121], v[22:23], s[12:13], -v[36:37]
	v_fma_f64 v[36:37], v[22:23], s[12:13], v[36:37]
	v_add_f64 v[38:39], v[38:39], v[42:43]
	v_fma_f64 v[42:43], v[18:19], s[34:35], v[102:103]
	v_fma_f64 v[18:19], v[18:19], s[26:27], v[118:119]
	;; [unrolled: 1-line block ×4, first 2 shown]
	v_add_f64 v[64:65], v[120:121], v[64:65]
	v_fma_f64 v[120:121], v[12:13], s[18:19], v[98:99]
	v_fma_f64 v[98:99], v[12:13], s[18:19], -v[98:99]
	v_add_f64 v[36:37], v[36:37], v[40:41]
	v_fma_f64 v[40:41], v[28:29], s[46:47], v[110:111]
	v_fma_f64 v[28:29], v[28:29], s[42:43], v[112:113]
	v_add_f64 v[42:43], v[42:43], v[84:85]
	v_add_f64 v[18:19], v[18:19], v[56:57]
	v_mul_f64 v[112:113], v[20:21], s[12:13]
	v_mul_f64 v[84:85], v[20:21], s[26:27]
	v_add_f64 v[70:71], v[102:103], v[70:71]
	v_add_f64 v[96:97], v[120:121], v[96:97]
	;; [unrolled: 1-line block ×3, first 2 shown]
	v_fma_f64 v[98:99], v[14:15], s[30:31], v[108:109]
	v_add_f64 v[40:41], v[40:41], v[66:67]
	v_add_f64 v[28:29], v[28:29], v[58:59]
	v_mul_f64 v[58:59], v[30:31], s[18:19]
	v_mul_f64 v[108:109], v[24:25], s[4:5]
	v_add_f64 v[42:43], v[80:81], v[42:43]
	v_add_f64 v[18:19], v[22:23], v[18:19]
	v_mul_f64 v[22:23], v[16:17], s[22:23]
	v_mul_f64 v[66:67], v[16:17], s[40:41]
	v_fma_f64 v[102:103], v[2:3], s[42:43], v[84:85]
	v_add_f64 v[94:95], v[98:99], v[94:95]
	v_mul_f64 v[98:99], v[32:33], s[46:47]
	v_add_f64 v[40:41], v[106:107], v[40:41]
	v_add_f64 v[26:27], v[26:27], v[28:29]
	v_fma_f64 v[28:29], v[8:9], s[18:19], -v[108:109]
	v_mul_f64 v[106:107], v[16:17], s[16:17]
	v_fma_f64 v[56:57], v[0:1], s[28:29], v[66:67]
	v_fma_f64 v[66:67], v[0:1], s[28:29], -v[66:67]
	v_fma_f64 v[120:121], v[12:13], s[34:35], v[98:99]
	v_fma_f64 v[98:99], v[12:13], s[34:35], -v[98:99]
	v_add_f64 v[100:101], v[120:121], v[100:101]
	v_fma_f64 v[120:121], v[12:13], s[20:21], -v[54:55]
	v_add_f64 v[76:77], v[98:99], v[76:77]
	v_mul_f64 v[98:99], v[16:17], s[38:39]
	v_mul_f64 v[16:17], v[16:17], s[44:45]
	v_add_f64 v[50:51], v[120:121], v[50:51]
	v_mul_f64 v[120:121], v[34:35], s[12:13]
	v_mul_f64 v[34:35], v[34:35], s[28:29]
	v_fma_f64 v[122:123], v[14:15], s[38:39], v[120:121]
	v_fma_f64 v[110:111], v[14:15], s[2:3], v[120:121]
	v_add_f64 v[74:75], v[122:123], v[74:75]
	v_mul_f64 v[122:123], v[32:33], s[38:39]
	v_mul_f64 v[32:33], v[32:33], s[24:25]
	v_add_f64 v[40:41], v[110:111], v[40:41]
	v_fma_f64 v[110:111], v[0:1], s[26:27], v[106:107]
	v_fma_f64 v[124:125], v[12:13], s[12:13], -v[122:123]
	v_fma_f64 v[80:81], v[12:13], s[12:13], v[122:123]
	v_add_f64 v[78:79], v[124:125], v[78:79]
	v_fma_f64 v[124:125], v[14:15], s[24:25], v[34:35]
	v_fma_f64 v[34:35], v[14:15], s[40:41], v[34:35]
	;; [unrolled: 1-line block ×4, first 2 shown]
	v_add_f64 v[42:43], v[80:81], v[42:43]
	v_fma_f64 v[58:59], v[10:11], s[44:45], v[58:59]
	v_fma_f64 v[80:81], v[8:9], s[18:19], v[108:109]
	;; [unrolled: 1-line block ×3, first 2 shown]
	v_add_f64 v[28:29], v[28:29], v[78:79]
	v_add_f64 v[62:63], v[124:125], v[62:63]
	v_fma_f64 v[124:125], v[12:13], s[28:29], -v[32:33]
	v_fma_f64 v[32:33], v[12:13], s[28:29], v[32:33]
	v_fma_f64 v[12:13], v[12:13], s[20:21], v[54:55]
	v_mul_f64 v[54:55], v[20:21], s[20:21]
	v_add_f64 v[34:35], v[34:35], v[38:39]
	v_mul_f64 v[20:21], v[20:21], s[18:19]
	v_add_f64 v[14:15], v[14:15], v[26:27]
	v_add_f64 v[74:75], v[86:87], v[74:75]
	v_fma_f64 v[86:87], v[0:1], s[12:13], -v[98:99]
	v_fma_f64 v[78:79], v[0:1], s[20:21], -v[22:23]
	v_add_f64 v[40:41], v[58:59], v[40:41]
	v_add_f64 v[58:59], v[80:81], v[42:43]
	v_fma_f64 v[80:81], v[2:3], s[2:3], v[112:113]
	v_fma_f64 v[112:113], v[0:1], s[18:19], v[16:17]
	;; [unrolled: 1-line block ×3, first 2 shown]
	v_add_f64 v[64:65], v[124:125], v[64:65]
	v_mul_f64 v[124:125], v[30:31], s[26:27]
	v_add_f64 v[32:33], v[32:33], v[36:37]
	v_add_f64 v[12:13], v[12:13], v[18:19]
	v_fma_f64 v[26:27], v[2:3], s[22:23], v[54:55]
	v_fma_f64 v[42:43], v[2:3], s[4:5], v[20:21]
	;; [unrolled: 1-line block ×3, first 2 shown]
	v_add_f64 v[18:19], v[88:89], v[46:47]
	v_fma_f64 v[126:127], v[10:11], s[42:43], v[124:125]
	v_fma_f64 v[124:125], v[10:11], s[16:17], v[124:125]
	v_add_f64 v[26:27], v[26:27], v[74:75]
	v_add_f64 v[92:93], v[126:127], v[92:93]
	v_mul_f64 v[126:127], v[24:25], s[16:17]
	v_add_f64 v[68:69], v[124:125], v[68:69]
	v_fma_f64 v[124:125], v[8:9], s[26:27], -v[126:127]
	v_fma_f64 v[128:129], v[8:9], s[26:27], v[126:127]
	v_add_f64 v[72:73], v[124:125], v[72:73]
	v_mul_f64 v[124:125], v[30:31], s[12:13]
	v_add_f64 v[96:97], v[128:129], v[96:97]
	v_mul_f64 v[30:31], v[30:31], s[34:35]
	v_fma_f64 v[126:127], v[10:11], s[2:3], v[124:125]
	v_fma_f64 v[116:117], v[10:11], s[38:39], v[124:125]
	;; [unrolled: 1-line block ×6, first 2 shown]
	v_fma_f64 v[84:85], v[0:1], s[26:27], -v[106:107]
	v_add_f64 v[94:95], v[126:127], v[94:95]
	v_mul_f64 v[126:127], v[24:25], s[38:39]
	v_mul_f64 v[24:25], v[24:25], s[46:47]
	v_add_f64 v[38:39], v[38:39], v[62:63]
	v_fma_f64 v[62:63], v[2:3], s[44:45], v[20:21]
	v_add_f64 v[70:71], v[116:117], v[70:71]
	v_add_f64 v[116:117], v[10:11], v[14:15]
	;; [unrolled: 1-line block ×5, first 2 shown]
	v_fma_f64 v[128:129], v[8:9], s[12:13], v[126:127]
	v_fma_f64 v[36:37], v[8:9], s[34:35], -v[24:25]
	v_fma_f64 v[118:119], v[8:9], s[12:13], -v[126:127]
	v_fma_f64 v[24:25], v[8:9], s[34:35], v[24:25]
	v_add_f64 v[100:101], v[128:129], v[100:101]
	v_fma_f64 v[128:129], v[8:9], s[28:29], -v[90:91]
	v_fma_f64 v[8:9], v[8:9], s[28:29], v[90:91]
	v_add_f64 v[36:37], v[36:37], v[64:65]
	v_fma_f64 v[64:65], v[0:1], s[18:19], -v[16:17]
	v_add_f64 v[76:77], v[118:119], v[76:77]
	v_add_f64 v[90:91], v[30:31], v[34:35]
	;; [unrolled: 1-line block ×3, first 2 shown]
	v_fma_f64 v[118:119], v[0:1], s[20:21], v[22:23]
	v_add_f64 v[16:17], v[114:115], v[48:49]
	v_add_f64 v[22:23], v[108:109], v[52:53]
	;; [unrolled: 1-line block ×19, first 2 shown]
	v_mul_u32_u24_e32 v50, 13, v45
	v_lshl_add_u32 v50, v50, 4, v215
	ds_write_b128 v50, v[4:7]
	ds_write_b128 v50, v[16:19] offset:16
	ds_write_b128 v50, v[20:23] offset:32
	;; [unrolled: 1-line block ×11, first 2 shown]
	s_clause 0x3
	buffer_load_dword v0, off, s[48:51], 0
	buffer_load_dword v1, off, s[48:51], 0 offset:4
	buffer_load_dword v2, off, s[48:51], 0 offset:8
	;; [unrolled: 1-line block ×3, first 2 shown]
	s_waitcnt vmcnt(0)
	ds_write_b128 v50, v[0:3] offset:192
.LBB0_7:
	s_or_b32 exec_lo, exec_lo, s33
	v_add_co_u32 v46, null, v182, 26
	v_lshlrev_b32_e32 v60, 6, v182
	s_waitcnt lgkmcnt(0)
	s_waitcnt_vscnt null, 0x0
	s_barrier
	v_and_b32_e32 v0, 0xff, v46
	buffer_gl0_inv
	s_clause 0x3
	global_load_dwordx4 v[76:79], v60, s[0:1]
	global_load_dwordx4 v[72:75], v60, s[0:1] offset:16
	global_load_dwordx4 v[64:67], v60, s[0:1] offset:32
	global_load_dwordx4 v[56:59], v60, s[0:1] offset:48
	v_mul_lo_u16 v0, 0x4f, v0
	v_add_co_u32 v47, null, v182, 39
	s_mov_b32 s18, 0x134454ff
	s_mov_b32 s19, 0x3fee6f0e
	v_lshrrev_b16 v0, 10, v0
	v_and_b32_e32 v1, 0xff, v47
	s_mov_b32 s17, 0xbfee6f0e
	s_mov_b32 s16, s18
	s_mov_b32 s2, 0x4755a5e
	v_mul_lo_u16 v0, v0, 13
	v_mul_lo_u16 v1, 0x4f, v1
	s_mov_b32 s3, 0x3fe2cf23
	s_mov_b32 s13, 0xbfe2cf23
	;; [unrolled: 1-line block ×3, first 2 shown]
	v_sub_nc_u16 v62, v46, v0
	v_lshrrev_b16 v1, 10, v1
	s_mov_b32 s4, 0x372fe950
	s_mov_b32 s5, 0x3fd3c6ef
	v_lshlrev_b16 v0, 2, v62
	v_mul_lo_u16 v1, v1, 13
	v_and_b32_e32 v0, 0xfc, v0
	v_sub_nc_u16 v63, v47, v1
	v_lshlrev_b32_e32 v47, 6, v47
	v_lshlrev_b32_e32 v0, 4, v0
	s_clause 0x3
	global_load_dwordx4 v[112:115], v0, s[0:1]
	global_load_dwordx4 v[108:111], v0, s[0:1] offset:16
	global_load_dwordx4 v[124:127], v0, s[0:1] offset:32
	global_load_dwordx4 v[120:123], v0, s[0:1] offset:48
	v_lshlrev_b16 v0, 2, v63
	v_and_b32_e32 v0, 0xfc, v0
	v_lshlrev_b32_e32 v61, 4, v0
	global_load_dwordx4 v[128:131], v61, s[0:1]
	ds_read_b128 v[0:3], v164 offset:1040
	ds_read_b128 v[4:7], v164 offset:2080
	;; [unrolled: 1-line block ×13, first 2 shown]
	s_waitcnt vmcnt(8) lgkmcnt(12)
	v_mul_f64 v[8:9], v[2:3], v[78:79]
	v_mul_f64 v[10:11], v[0:1], v[78:79]
	s_waitcnt vmcnt(7) lgkmcnt(11)
	v_mul_f64 v[16:17], v[6:7], v[74:75]
	v_mul_f64 v[18:19], v[4:5], v[74:75]
	s_waitcnt vmcnt(6) lgkmcnt(10)
	v_mul_f64 v[40:41], v[14:15], v[66:67]
	s_waitcnt vmcnt(5) lgkmcnt(9)
	v_mul_f64 v[84:85], v[26:27], v[58:59]
	s_waitcnt lgkmcnt(8)
	v_mul_f64 v[88:89], v[30:31], v[78:79]
	v_mul_f64 v[42:43], v[12:13], v[66:67]
	;; [unrolled: 1-line block ×4, first 2 shown]
	s_waitcnt lgkmcnt(7)
	v_mul_f64 v[96:97], v[34:35], v[74:75]
	v_mul_f64 v[98:99], v[32:33], v[74:75]
	s_waitcnt lgkmcnt(5)
	v_mul_f64 v[100:101], v[38:39], v[66:67]
	v_mul_f64 v[102:103], v[36:37], v[66:67]
	s_waitcnt lgkmcnt(3)
	v_mul_f64 v[104:105], v[50:51], v[58:59]
	v_mul_f64 v[106:107], v[48:49], v[58:59]
	v_fma_f64 v[20:21], v[0:1], v[76:77], -v[8:9]
	v_fma_f64 v[8:9], v[2:3], v[76:77], v[10:11]
	v_fma_f64 v[22:23], v[4:5], v[72:73], -v[16:17]
	v_fma_f64 v[10:11], v[6:7], v[72:73], v[18:19]
	v_fma_f64 v[16:17], v[12:13], v[64:65], -v[40:41]
	v_fma_f64 v[18:19], v[24:25], v[56:57], -v[84:85]
	;; [unrolled: 1-line block ×3, first 2 shown]
	ds_read_b128 v[0:3], v164 offset:2704
	ds_read_b128 v[4:7], v164 offset:4576
	v_fma_f64 v[12:13], v[14:15], v[64:65], v[42:43]
	v_fma_f64 v[14:15], v[26:27], v[56:57], v[86:87]
	;; [unrolled: 1-line block ×3, first 2 shown]
	ds_read_b128 v[24:27], v164 offset:4784
	v_fma_f64 v[42:43], v[32:33], v[72:73], -v[96:97]
	v_fma_f64 v[32:33], v[34:35], v[72:73], v[98:99]
	v_fma_f64 v[34:35], v[36:37], v[64:65], -v[100:101]
	s_waitcnt vmcnt(4) lgkmcnt(5)
	v_mul_f64 v[84:85], v[54:55], v[114:115]
	s_waitcnt vmcnt(3) lgkmcnt(3)
	v_mul_f64 v[88:89], v[94:95], v[110:111]
	v_mul_f64 v[86:87], v[52:53], v[114:115]
	;; [unrolled: 1-line block ×3, first 2 shown]
	s_waitcnt vmcnt(2)
	v_mul_f64 v[96:97], v[70:71], v[126:127]
	v_fma_f64 v[28:29], v[38:39], v[64:65], v[102:103]
	v_fma_f64 v[38:39], v[48:49], v[56:57], -v[104:105]
	v_fma_f64 v[36:37], v[50:51], v[56:57], v[106:107]
	v_mul_f64 v[98:99], v[68:69], v[126:127]
	v_fma_f64 v[144:145], v[52:53], v[112:113], -v[84:85]
	buffer_store_dword v112, off, s[48:51], 0 offset:272 ; 4-byte Folded Spill
	buffer_store_dword v113, off, s[48:51], 0 offset:276 ; 4-byte Folded Spill
	;; [unrolled: 1-line block ×4, first 2 shown]
	v_fma_f64 v[152:153], v[92:93], v[108:109], -v[88:89]
	buffer_store_dword v108, off, s[48:51], 0 offset:256 ; 4-byte Folded Spill
	buffer_store_dword v109, off, s[48:51], 0 offset:260 ; 4-byte Folded Spill
	;; [unrolled: 1-line block ×4, first 2 shown]
	s_waitcnt vmcnt(1) lgkmcnt(1)
	v_mul_f64 v[52:53], v[6:7], v[122:123]
	ds_read_b128 v[48:51], v164 offset:1664
	v_fma_f64 v[146:147], v[68:69], v[124:125], -v[96:97]
	buffer_store_dword v124, off, s[48:51], 0 offset:304 ; 4-byte Folded Spill
	buffer_store_dword v125, off, s[48:51], 0 offset:308 ; 4-byte Folded Spill
	;; [unrolled: 1-line block ×4, first 2 shown]
	v_add_f64 v[84:85], v[8:9], -v[14:15]
	v_add_f64 v[88:89], v[20:21], -v[18:19]
	v_fma_f64 v[154:155], v[4:5], v[120:121], -v[52:53]
	v_fma_f64 v[140:141], v[54:55], v[112:113], v[86:87]
	v_mul_f64 v[54:55], v[4:5], v[122:123]
	v_fma_f64 v[148:149], v[94:95], v[108:109], v[90:91]
	ds_read_b128 v[108:111], v164 offset:1872
	buffer_store_dword v120, off, s[48:51], 0 offset:288 ; 4-byte Folded Spill
	buffer_store_dword v121, off, s[48:51], 0 offset:292 ; 4-byte Folded Spill
	;; [unrolled: 1-line block ×4, first 2 shown]
	s_waitcnt vmcnt(0) lgkmcnt(1)
	v_mul_f64 v[4:5], v[50:51], v[130:131]
	v_fma_f64 v[142:143], v[70:71], v[124:125], v[98:99]
	v_add_f64 v[86:87], v[10:11], -v[12:13]
	v_add_f64 v[90:91], v[22:23], -v[16:17]
	v_fma_f64 v[126:127], v[48:49], v[128:129], -v[4:5]
	v_fma_f64 v[150:151], v[6:7], v[120:121], v[54:55]
	v_mul_f64 v[6:7], v[48:49], v[130:131]
	buffer_store_dword v128, off, s[48:51], 0 offset:320 ; 4-byte Folded Spill
	buffer_store_dword v129, off, s[48:51], 0 offset:324 ; 4-byte Folded Spill
	;; [unrolled: 1-line block ×4, first 2 shown]
	v_fma_f64 v[124:125], v[50:51], v[128:129], v[6:7]
	global_load_dwordx4 v[48:51], v61, s[0:1] offset:16
	s_waitcnt vmcnt(0)
	v_mul_f64 v[4:5], v[2:3], v[50:51]
	v_fma_f64 v[128:129], v[0:1], v[48:49], -v[4:5]
	v_mul_f64 v[0:1], v[0:1], v[50:51]
	buffer_store_dword v48, off, s[48:51], 0 offset:336 ; 4-byte Folded Spill
	buffer_store_dword v49, off, s[48:51], 0 offset:340 ; 4-byte Folded Spill
	;; [unrolled: 1-line block ×4, first 2 shown]
	global_load_dwordx4 v[50:53], v61, s[0:1] offset:32
	v_fma_f64 v[130:131], v[2:3], v[48:49], v[0:1]
	ds_read_b128 v[0:3], v164 offset:3744
	ds_read_b128 v[4:7], v164 offset:3952
	s_waitcnt vmcnt(0) lgkmcnt(1)
	v_mul_f64 v[48:49], v[2:3], v[52:53]
	v_fma_f64 v[134:135], v[0:1], v[50:51], -v[48:49]
	v_mul_f64 v[0:1], v[0:1], v[52:53]
	buffer_store_dword v50, off, s[48:51], 0 offset:352 ; 4-byte Folded Spill
	buffer_store_dword v51, off, s[48:51], 0 offset:356 ; 4-byte Folded Spill
	;; [unrolled: 1-line block ×4, first 2 shown]
	v_fma_f64 v[132:133], v[2:3], v[50:51], v[0:1]
	global_load_dwordx4 v[48:51], v61, s[0:1] offset:48
	v_add_co_u32 v61, null, v182, 52
	v_add_f64 v[2:3], v[18:19], -v[16:17]
	s_waitcnt vmcnt(0)
	v_mul_f64 v[0:1], v[26:27], v[50:51]
	v_fma_f64 v[136:137], v[24:25], v[48:49], -v[0:1]
	v_mul_f64 v[0:1], v[24:25], v[50:51]
	buffer_store_dword v48, off, s[48:51], 0 offset:368 ; 4-byte Folded Spill
	buffer_store_dword v49, off, s[48:51], 0 offset:372 ; 4-byte Folded Spill
	buffer_store_dword v50, off, s[48:51], 0 offset:376 ; 4-byte Folded Spill
	buffer_store_dword v51, off, s[48:51], 0 offset:380 ; 4-byte Folded Spill
	v_fma_f64 v[138:139], v[26:27], v[48:49], v[0:1]
	v_and_b32_e32 v0, 0xff, v61
	v_mul_lo_u16 v0, 0x4f, v0
	v_lshrrev_b16 v0, 10, v0
	v_mul_lo_u16 v0, v0, 13
	v_sub_nc_u16 v68, v61, v0
	v_lshlrev_b16 v0, 2, v68
	v_and_b32_e32 v0, 0xfc, v0
	v_lshlrev_b32_e32 v52, 4, v0
	global_load_dwordx4 v[24:27], v52, s[0:1]
	s_waitcnt vmcnt(0)
	v_mul_f64 v[0:1], v[110:111], v[26:27]
	v_fma_f64 v[156:157], v[108:109], v[24:25], -v[0:1]
	v_mul_f64 v[0:1], v[108:109], v[26:27]
	buffer_store_dword v24, off, s[48:51], 0 offset:384 ; 4-byte Folded Spill
	buffer_store_dword v25, off, s[48:51], 0 offset:388 ; 4-byte Folded Spill
	;; [unrolled: 1-line block ×4, first 2 shown]
	v_fma_f64 v[158:159], v[110:111], v[24:25], v[0:1]
	global_load_dwordx4 v[24:27], v52, s[0:1] offset:16
	v_add_f64 v[92:93], v[118:119], v[158:159]
	s_waitcnt vmcnt(0)
	v_mul_f64 v[0:1], v[82:83], v[26:27]
	v_fma_f64 v[48:49], v[80:81], v[24:25], -v[0:1]
	v_mul_f64 v[0:1], v[80:81], v[26:27]
	buffer_store_dword v24, off, s[48:51], 0 offset:400 ; 4-byte Folded Spill
	buffer_store_dword v25, off, s[48:51], 0 offset:404 ; 4-byte Folded Spill
	;; [unrolled: 1-line block ×4, first 2 shown]
	v_add_f64 v[94:95], v[48:49], -v[156:157]
	v_fma_f64 v[50:51], v[82:83], v[24:25], v[0:1]
	global_load_dwordx4 v[24:27], v52, s[0:1] offset:32
	s_waitcnt vmcnt(0) lgkmcnt(0)
	v_mul_f64 v[0:1], v[6:7], v[26:27]
	v_fma_f64 v[160:161], v[4:5], v[24:25], -v[0:1]
	v_mul_f64 v[0:1], v[4:5], v[26:27]
	buffer_store_dword v24, off, s[48:51], 0 offset:416 ; 4-byte Folded Spill
	buffer_store_dword v25, off, s[48:51], 0 offset:420 ; 4-byte Folded Spill
	;; [unrolled: 1-line block ×4, first 2 shown]
	v_fma_f64 v[162:163], v[6:7], v[24:25], v[0:1]
	v_add_f64 v[0:1], v[20:21], -v[22:23]
	ds_read_b128 v[24:27], v164
	ds_read_b128 v[80:83], v164 offset:208
	v_add_f64 v[4:5], v[0:1], v[2:3]
	v_add_f64 v[0:1], v[8:9], -v[10:11]
	v_add_f64 v[2:3], v[14:15], -v[12:13]
	v_add_f64 v[6:7], v[0:1], v[2:3]
	v_add_f64 v[0:1], v[22:23], v[16:17]
	s_waitcnt lgkmcnt(1)
	v_fma_f64 v[53:54], v[0:1], -0.5, v[24:25]
	v_add_f64 v[0:1], v[10:11], v[12:13]
	v_fma_f64 v[69:70], v[0:1], -0.5, v[26:27]
	v_fma_f64 v[0:1], v[84:85], s[18:19], v[53:54]
	v_fma_f64 v[53:54], v[84:85], s[16:17], v[53:54]
	;; [unrolled: 1-line block ×10, first 2 shown]
	v_add_f64 v[53:54], v[20:21], v[18:19]
	v_fma_f64 v[2:3], v[6:7], s[4:5], v[2:3]
	v_fma_f64 v[6:7], v[6:7], s[4:5], v[69:70]
	v_add_f64 v[69:70], v[8:9], v[14:15]
	v_fma_f64 v[53:54], v[53:54], -0.5, v[24:25]
	v_add_f64 v[24:25], v[24:25], v[20:21]
	v_add_f64 v[20:21], v[22:23], -v[20:21]
	v_fma_f64 v[69:70], v[69:70], -0.5, v[26:27]
	v_add_f64 v[26:27], v[26:27], v[8:9]
	v_add_f64 v[22:23], v[24:25], v[22:23]
	v_add_f64 v[24:25], v[26:27], v[10:11]
	v_add_f64 v[26:27], v[10:11], -v[8:9]
	v_add_f64 v[8:9], v[22:23], v[16:17]
	v_add_f64 v[16:17], v[16:17], -v[18:19]
	v_fma_f64 v[22:23], v[90:91], s[18:19], v[69:70]
	v_add_f64 v[10:11], v[24:25], v[12:13]
	v_add_f64 v[12:13], v[12:13], -v[14:15]
	v_add_f64 v[8:9], v[8:9], v[18:19]
	v_fma_f64 v[18:19], v[86:87], s[18:19], v[53:54]
	v_fma_f64 v[24:25], v[90:91], s[16:17], v[69:70]
	v_add_f64 v[16:17], v[20:21], v[16:17]
	v_add_f64 v[90:91], v[42:43], -v[34:35]
	v_add_f64 v[10:11], v[10:11], v[14:15]
	v_fma_f64 v[14:15], v[86:87], s[16:17], v[53:54]
	v_add_f64 v[20:21], v[26:27], v[12:13]
	v_fma_f64 v[18:19], v[84:85], s[12:13], v[18:19]
	v_add_f64 v[86:87], v[32:33], -v[28:29]
	v_fma_f64 v[12:13], v[84:85], s[2:3], v[14:15]
	v_fma_f64 v[14:15], v[88:89], s[12:13], v[22:23]
	v_fma_f64 v[22:23], v[88:89], s[2:3], v[24:25]
	v_add_f64 v[84:85], v[30:31], -v[36:37]
	v_add_f64 v[88:89], v[40:41], -v[38:39]
	v_fma_f64 v[12:13], v[16:17], s[4:5], v[12:13]
	v_fma_f64 v[14:15], v[20:21], s[4:5], v[14:15]
	;; [unrolled: 1-line block ×4, first 2 shown]
	v_add_f64 v[20:21], v[40:41], -v[42:43]
	v_add_f64 v[22:23], v[38:39], -v[34:35]
	v_add_f64 v[24:25], v[20:21], v[22:23]
	v_add_f64 v[20:21], v[30:31], -v[32:33]
	v_add_f64 v[22:23], v[36:37], -v[28:29]
	v_add_f64 v[26:27], v[20:21], v[22:23]
	v_add_f64 v[20:21], v[42:43], v[34:35]
	s_waitcnt lgkmcnt(0)
	v_fma_f64 v[53:54], v[20:21], -0.5, v[80:81]
	v_add_f64 v[20:21], v[32:33], v[28:29]
	v_fma_f64 v[69:70], v[20:21], -0.5, v[82:83]
	v_fma_f64 v[20:21], v[84:85], s[18:19], v[53:54]
	v_fma_f64 v[53:54], v[84:85], s[16:17], v[53:54]
	;; [unrolled: 1-line block ×10, first 2 shown]
	v_add_f64 v[53:54], v[40:41], v[38:39]
	v_fma_f64 v[22:23], v[26:27], s[4:5], v[22:23]
	v_fma_f64 v[26:27], v[26:27], s[4:5], v[69:70]
	v_add_f64 v[69:70], v[30:31], v[36:37]
	v_fma_f64 v[53:54], v[53:54], -0.5, v[80:81]
	v_add_f64 v[80:81], v[80:81], v[40:41]
	v_add_f64 v[40:41], v[42:43], -v[40:41]
	v_fma_f64 v[69:70], v[69:70], -0.5, v[82:83]
	v_add_f64 v[82:83], v[82:83], v[30:31]
	v_add_f64 v[30:31], v[32:33], -v[30:31]
	v_add_f64 v[42:43], v[80:81], v[42:43]
	v_add_f64 v[80:81], v[82:83], v[32:33]
	;; [unrolled: 1-line block ×4, first 2 shown]
	v_add_f64 v[80:81], v[34:35], -v[38:39]
	v_add_f64 v[32:33], v[32:33], v[38:39]
	v_add_f64 v[28:29], v[28:29], -v[36:37]
	v_fma_f64 v[38:39], v[86:87], s[18:19], v[53:54]
	v_add_f64 v[34:35], v[42:43], v[36:37]
	v_fma_f64 v[36:37], v[86:87], s[16:17], v[53:54]
	v_fma_f64 v[42:43], v[90:91], s[18:19], v[69:70]
	;; [unrolled: 1-line block ×3, first 2 shown]
	v_add_f64 v[69:70], v[40:41], v[80:81]
	global_load_dwordx4 v[80:83], v52, s[0:1] offset:48
	v_add_f64 v[28:29], v[30:31], v[28:29]
	v_add_f64 v[90:91], v[116:117], v[156:157]
	v_fma_f64 v[30:31], v[84:85], s[2:3], v[36:37]
	v_fma_f64 v[36:37], v[84:85], s[12:13], v[38:39]
	;; [unrolled: 1-line block ×4, first 2 shown]
	v_add_f64 v[84:85], v[50:51], -v[162:163]
	v_add_f64 v[88:89], v[48:49], -v[160:161]
	v_fma_f64 v[40:41], v[69:70], s[4:5], v[30:31]
	v_fma_f64 v[120:121], v[69:70], s[4:5], v[36:37]
	;; [unrolled: 1-line block ×4, first 2 shown]
	ds_read_b128 v[28:31], v164 offset:4992
	v_add_f64 v[69:70], v[134:135], -v[136:137]
	s_waitcnt vmcnt(0) lgkmcnt(0)
	v_mul_f64 v[36:37], v[30:31], v[82:83]
	v_fma_f64 v[52:53], v[28:29], v[80:81], -v[36:37]
	v_mul_f64 v[28:29], v[28:29], v[82:83]
	buffer_store_dword v80, off, s[48:51], 0 offset:688 ; 4-byte Folded Spill
	buffer_store_dword v81, off, s[48:51], 0 offset:692 ; 4-byte Folded Spill
	;; [unrolled: 1-line block ×4, first 2 shown]
	v_add_f64 v[86:87], v[156:157], -v[52:53]
	v_fma_f64 v[54:55], v[30:31], v[80:81], v[28:29]
	ds_read_b128 v[36:39], v164 offset:416
	ds_read_b128 v[28:31], v164 offset:624
	s_waitcnt lgkmcnt(0)
	s_waitcnt_vscnt null, 0x0
	s_barrier
	buffer_gl0_inv
	ds_write_b128 v164, v[8:11]
	ds_write_b128 v164, v[32:35] offset:1040
	ds_write_b128 v164, v[0:3] offset:208
	;; [unrolled: 1-line block ×9, first 2 shown]
	v_add_f64 v[0:1], v[144:145], -v[152:153]
	v_add_f64 v[2:3], v[154:155], -v[146:147]
	;; [unrolled: 1-line block ×12, first 2 shown]
	v_add_f64 v[20:21], v[36:37], v[144:145]
	v_add_f64 v[22:23], v[38:39], v[140:141]
	;; [unrolled: 1-line block ×3, first 2 shown]
	v_add_f64 v[0:1], v[140:141], -v[148:149]
	v_add_f64 v[2:3], v[150:151], -v[142:143]
	v_add_f64 v[20:21], v[20:21], v[152:153]
	v_add_f64 v[22:23], v[22:23], v[148:149]
	;; [unrolled: 1-line block ×6, first 2 shown]
	v_fma_f64 v[8:9], v[0:1], -0.5, v[36:37]
	v_add_f64 v[0:1], v[148:149], v[142:143]
	v_add_f64 v[80:81], v[20:21], v[154:155]
	;; [unrolled: 1-line block ×3, first 2 shown]
	v_add_f64 v[20:21], v[142:143], -v[150:151]
	v_fma_f64 v[10:11], v[0:1], -0.5, v[38:39]
	v_fma_f64 v[0:1], v[12:13], s[18:19], v[8:9]
	v_fma_f64 v[8:9], v[12:13], s[16:17], v[8:9]
	v_add_f64 v[20:21], v[26:27], v[20:21]
	v_fma_f64 v[2:3], v[16:17], s[16:17], v[10:11]
	v_fma_f64 v[10:11], v[16:17], s[18:19], v[10:11]
	;; [unrolled: 1-line block ×8, first 2 shown]
	v_add_f64 v[8:9], v[144:145], v[154:155]
	v_fma_f64 v[2:3], v[6:7], s[4:5], v[2:3]
	v_fma_f64 v[6:7], v[6:7], s[4:5], v[10:11]
	v_add_f64 v[10:11], v[140:141], v[150:151]
	v_fma_f64 v[8:9], v[8:9], -0.5, v[36:37]
	v_add_f64 v[36:37], v[126:127], -v[136:137]
	v_fma_f64 v[10:11], v[10:11], -0.5, v[38:39]
	v_add_f64 v[38:39], v[128:129], -v[134:135]
	v_fma_f64 v[22:23], v[14:15], s[16:17], v[8:9]
	v_fma_f64 v[8:9], v[14:15], s[18:19], v[8:9]
	;; [unrolled: 1-line block ×4, first 2 shown]
	v_add_f64 v[18:19], v[24:25], v[32:33]
	v_fma_f64 v[22:23], v[12:13], s[2:3], v[22:23]
	v_fma_f64 v[12:13], v[12:13], s[12:13], v[8:9]
	v_add_f64 v[32:33], v[124:125], -v[138:139]
	v_fma_f64 v[14:15], v[16:17], s[12:13], v[14:15]
	v_fma_f64 v[16:17], v[16:17], s[2:3], v[10:11]
	;; [unrolled: 1-line block ×4, first 2 shown]
	v_add_f64 v[18:19], v[136:137], -v[134:135]
	v_fma_f64 v[10:11], v[20:21], s[4:5], v[14:15]
	v_fma_f64 v[14:15], v[20:21], s[4:5], v[16:17]
	v_add_f64 v[16:17], v[126:127], -v[128:129]
	v_add_f64 v[20:21], v[16:17], v[18:19]
	v_add_f64 v[16:17], v[124:125], -v[130:131]
	v_add_f64 v[18:19], v[138:139], -v[132:133]
	v_add_f64 v[22:23], v[16:17], v[18:19]
	v_add_f64 v[16:17], v[128:129], v[134:135]
	v_fma_f64 v[24:25], v[16:17], -0.5, v[28:29]
	v_add_f64 v[16:17], v[130:131], v[132:133]
	v_fma_f64 v[26:27], v[16:17], -0.5, v[30:31]
	v_fma_f64 v[16:17], v[32:33], s[18:19], v[24:25]
	v_fma_f64 v[24:25], v[32:33], s[16:17], v[24:25]
	v_fma_f64 v[18:19], v[36:37], s[16:17], v[26:27]
	v_fma_f64 v[26:27], v[36:37], s[18:19], v[26:27]
	v_fma_f64 v[16:17], v[34:35], s[2:3], v[16:17]
	v_fma_f64 v[24:25], v[34:35], s[12:13], v[24:25]
	v_fma_f64 v[18:19], v[38:39], s[12:13], v[18:19]
	v_fma_f64 v[26:27], v[38:39], s[2:3], v[26:27]
	v_fma_f64 v[16:17], v[20:21], s[4:5], v[16:17]
	v_fma_f64 v[20:21], v[20:21], s[4:5], v[24:25]
	v_add_f64 v[24:25], v[126:127], v[136:137]
	v_fma_f64 v[18:19], v[22:23], s[4:5], v[18:19]
	v_fma_f64 v[22:23], v[22:23], s[4:5], v[26:27]
	v_add_f64 v[26:27], v[124:125], v[138:139]
	v_fma_f64 v[24:25], v[24:25], -0.5, v[28:29]
	v_add_f64 v[28:29], v[28:29], v[126:127]
	v_fma_f64 v[26:27], v[26:27], -0.5, v[30:31]
	v_add_f64 v[30:31], v[30:31], v[124:125]
	v_add_f64 v[28:29], v[28:29], v[128:129]
	;; [unrolled: 1-line block ×6, first 2 shown]
	v_add_f64 v[28:29], v[132:133], -v[138:139]
	v_add_f64 v[122:123], v[30:31], v[138:139]
	v_fma_f64 v[30:31], v[34:35], s[16:17], v[24:25]
	v_fma_f64 v[24:25], v[34:35], s[18:19], v[24:25]
	;; [unrolled: 1-line block ×4, first 2 shown]
	v_add_f64 v[38:39], v[40:41], v[69:70]
	v_add_f64 v[28:29], v[42:43], v[28:29]
	v_add_f64 v[69:70], v[158:159], -v[54:55]
	v_fma_f64 v[30:31], v[32:33], s[2:3], v[30:31]
	v_fma_f64 v[24:25], v[32:33], s[12:13], v[24:25]
	;; [unrolled: 1-line block ×6, first 2 shown]
	v_add_f64 v[24:25], v[156:157], -v[48:49]
	v_fma_f64 v[38:39], v[28:29], s[4:5], v[26:27]
	v_add_f64 v[26:27], v[52:53], -v[160:161]
	v_fma_f64 v[34:35], v[28:29], s[4:5], v[34:35]
	v_add_f64 v[28:29], v[54:55], -v[162:163]
	v_add_f64 v[24:25], v[24:25], v[26:27]
	v_add_f64 v[26:27], v[158:159], -v[50:51]
	v_add_f64 v[26:27], v[26:27], v[28:29]
	v_add_f64 v[28:29], v[48:49], v[160:161]
	;; [unrolled: 1-line block ×4, first 2 shown]
	v_add_f64 v[92:93], v[50:51], -v[158:159]
	v_fma_f64 v[40:41], v[28:29], -0.5, v[116:117]
	v_add_f64 v[28:29], v[50:51], v[162:163]
	v_add_f64 v[48:49], v[48:49], v[160:161]
	;; [unrolled: 1-line block ×3, first 2 shown]
	v_add_f64 v[90:91], v[160:161], -v[52:53]
	v_fma_f64 v[42:43], v[28:29], -0.5, v[118:119]
	v_fma_f64 v[28:29], v[69:70], s[18:19], v[40:41]
	v_fma_f64 v[40:41], v[69:70], s[16:17], v[40:41]
	v_add_f64 v[48:49], v[48:49], v[52:53]
	v_add_f64 v[50:51], v[50:51], v[54:55]
	v_fma_f64 v[30:31], v[86:87], s[16:17], v[42:43]
	v_fma_f64 v[42:43], v[86:87], s[18:19], v[42:43]
	;; [unrolled: 1-line block ×8, first 2 shown]
	v_add_f64 v[40:41], v[156:157], v[52:53]
	v_add_f64 v[52:53], v[162:163], -v[54:55]
	v_fma_f64 v[30:31], v[26:27], s[4:5], v[30:31]
	v_fma_f64 v[26:27], v[26:27], s[4:5], v[42:43]
	v_add_f64 v[42:43], v[158:159], v[54:55]
	v_fma_f64 v[40:41], v[40:41], -0.5, v[116:117]
	v_add_f64 v[52:53], v[92:93], v[52:53]
	v_fma_f64 v[42:43], v[42:43], -0.5, v[118:119]
	v_fma_f64 v[54:55], v[84:85], s[16:17], v[40:41]
	v_fma_f64 v[40:41], v[84:85], s[18:19], v[40:41]
	;; [unrolled: 1-line block ×4, first 2 shown]
	v_add_f64 v[88:89], v[94:95], v[90:91]
	v_fma_f64 v[54:55], v[69:70], s[2:3], v[54:55]
	v_fma_f64 v[40:41], v[69:70], s[12:13], v[40:41]
	;; [unrolled: 1-line block ×8, first 2 shown]
	v_and_b32_e32 v52, 0xff, v62
	v_lshl_add_u32 v169, v52, 4, v215
	v_and_b32_e32 v52, 0xff, v63
	ds_write_b128 v169, v[80:83] offset:2080
	v_lshl_add_u32 v53, v52, 4, v215
	v_and_b32_e32 v52, 0xff, v68
	v_mov_b32_e32 v80, v215
	ds_write_b128 v53, v[120:123] offset:3120
	v_lshl_add_u32 v52, v52, 4, v215
	ds_write_b128 v52, v[48:51] offset:4160
	ds_write_b128 v169, v[0:3] offset:2288
	;; [unrolled: 1-line block ×8, first 2 shown]
	buffer_store_dword v53, off, s[48:51], 0 offset:740 ; 4-byte Folded Spill
	ds_write_b128 v53, v[20:23] offset:3952
	ds_write_b128 v52, v[28:31] offset:4368
	;; [unrolled: 1-line block ×4, first 2 shown]
	buffer_store_dword v52, off, s[48:51], 0 offset:736 ; 4-byte Folded Spill
	ds_write_b128 v52, v[24:27] offset:4992
	s_waitcnt lgkmcnt(0)
	s_waitcnt_vscnt null, 0x0
	s_barrier
	buffer_gl0_inv
	s_clause 0x3
	global_load_dwordx4 v[52:55], v60, s[0:1] offset:832
	global_load_dwordx4 v[38:41], v60, s[0:1] offset:848
	;; [unrolled: 1-line block ×4, first 2 shown]
	ds_read_b128 v[0:3], v164 offset:1040
	ds_read_b128 v[8:11], v164 offset:2080
	;; [unrolled: 1-line block ×6, first 2 shown]
	s_waitcnt vmcnt(3) lgkmcnt(5)
	v_mul_f64 v[4:5], v[2:3], v[54:55]
	v_mul_f64 v[6:7], v[0:1], v[54:55]
	s_waitcnt vmcnt(2) lgkmcnt(4)
	v_mul_f64 v[12:13], v[10:11], v[40:41]
	v_mul_f64 v[14:15], v[8:9], v[40:41]
	s_waitcnt vmcnt(1) lgkmcnt(1)
	v_mul_f64 v[28:29], v[24:25], v[36:37]
	v_fma_f64 v[16:17], v[0:1], v[52:53], -v[4:5]
	buffer_store_dword v52, off, s[48:51], 0 offset:480 ; 4-byte Folded Spill
	buffer_store_dword v53, off, s[48:51], 0 offset:484 ; 4-byte Folded Spill
	buffer_store_dword v54, off, s[48:51], 0 offset:488 ; 4-byte Folded Spill
	buffer_store_dword v55, off, s[48:51], 0 offset:492 ; 4-byte Folded Spill
	v_fma_f64 v[18:19], v[8:9], v[38:39], -v[12:13]
	buffer_store_dword v38, off, s[48:51], 0 offset:464 ; 4-byte Folded Spill
	buffer_store_dword v39, off, s[48:51], 0 offset:468 ; 4-byte Folded Spill
	;; [unrolled: 1-line block ×4, first 2 shown]
	v_mul_f64 v[4:5], v[26:27], v[36:37]
	v_fma_f64 v[6:7], v[2:3], v[52:53], v[6:7]
	ds_read_b128 v[0:3], v164 offset:4160
	v_fma_f64 v[12:13], v[10:11], v[38:39], v[14:15]
	v_fma_f64 v[10:11], v[24:25], v[34:35], -v[4:5]
	buffer_store_dword v34, off, s[48:51], 0 offset:448 ; 4-byte Folded Spill
	buffer_store_dword v35, off, s[48:51], 0 offset:452 ; 4-byte Folded Spill
	;; [unrolled: 1-line block ×4, first 2 shown]
	ds_read_b128 v[40:43], v164 offset:4368
	s_waitcnt vmcnt(0) lgkmcnt(1)
	v_mul_f64 v[8:9], v[2:3], v[32:33]
	v_add_f64 v[92:93], v[18:19], -v[10:11]
	v_fma_f64 v[14:15], v[0:1], v[30:31], -v[8:9]
	v_mul_f64 v[0:1], v[0:1], v[32:33]
	buffer_store_dword v30, off, s[48:51], 0 offset:432 ; 4-byte Folded Spill
	buffer_store_dword v31, off, s[48:51], 0 offset:436 ; 4-byte Folded Spill
	;; [unrolled: 1-line block ×4, first 2 shown]
	v_add_f64 v[90:91], v[16:17], -v[14:15]
	v_fma_f64 v[4:5], v[26:27], v[34:35], v[28:29]
	v_add_f64 v[88:89], v[12:13], -v[4:5]
	v_fma_f64 v[8:9], v[2:3], v[30:31], v[0:1]
	v_lshlrev_b32_e32 v30, 6, v45
	v_lshlrev_b32_e32 v45, 6, v46
	global_load_dwordx4 v[26:29], v30, s[0:1] offset:832
	ds_read_b128 v[0:3], v164 offset:1248
	ds_read_b128 v[52:55], v164 offset:1456
	v_add_f64 v[86:87], v[6:7], -v[8:9]
	s_waitcnt vmcnt(0) lgkmcnt(1)
	v_mul_f64 v[24:25], v[2:3], v[28:29]
	v_fma_f64 v[36:37], v[0:1], v[26:27], -v[24:25]
	v_mul_f64 v[0:1], v[0:1], v[28:29]
	buffer_store_dword v26, off, s[48:51], 0 offset:496 ; 4-byte Folded Spill
	buffer_store_dword v27, off, s[48:51], 0 offset:500 ; 4-byte Folded Spill
	;; [unrolled: 1-line block ×4, first 2 shown]
	v_fma_f64 v[24:25], v[2:3], v[26:27], v[0:1]
	global_load_dwordx4 v[26:29], v30, s[0:1] offset:848
	s_waitcnt vmcnt(0)
	v_mul_f64 v[0:1], v[22:23], v[28:29]
	v_fma_f64 v[38:39], v[20:21], v[26:27], -v[0:1]
	v_mul_f64 v[0:1], v[20:21], v[28:29]
	buffer_store_dword v26, off, s[48:51], 0 offset:512 ; 4-byte Folded Spill
	buffer_store_dword v27, off, s[48:51], 0 offset:516 ; 4-byte Folded Spill
	;; [unrolled: 1-line block ×4, first 2 shown]
	global_load_dwordx4 v[68:71], v30, s[0:1] offset:864
	v_fma_f64 v[26:27], v[22:23], v[26:27], v[0:1]
	ds_read_b128 v[0:3], v164 offset:3328
	ds_read_b128 v[20:23], v164 offset:3536
	s_waitcnt vmcnt(0) lgkmcnt(1)
	v_mul_f64 v[28:29], v[2:3], v[70:71]
	v_fma_f64 v[32:33], v[0:1], v[68:69], -v[28:29]
	v_mul_f64 v[0:1], v[0:1], v[70:71]
	buffer_store_dword v68, off, s[48:51], 0 offset:528 ; 4-byte Folded Spill
	buffer_store_dword v69, off, s[48:51], 0 offset:532 ; 4-byte Folded Spill
	;; [unrolled: 1-line block ×4, first 2 shown]
	v_fma_f64 v[28:29], v[2:3], v[68:69], v[0:1]
	global_load_dwordx4 v[68:71], v30, s[0:1] offset:880
	s_waitcnt vmcnt(0)
	v_mul_f64 v[0:1], v[42:43], v[70:71]
	v_fma_f64 v[34:35], v[40:41], v[68:69], -v[0:1]
	v_mul_f64 v[0:1], v[40:41], v[70:71]
	buffer_store_dword v68, off, s[48:51], 0 offset:544 ; 4-byte Folded Spill
	buffer_store_dword v69, off, s[48:51], 0 offset:548 ; 4-byte Folded Spill
	buffer_store_dword v70, off, s[48:51], 0 offset:552 ; 4-byte Folded Spill
	buffer_store_dword v71, off, s[48:51], 0 offset:556 ; 4-byte Folded Spill
	v_fma_f64 v[30:31], v[42:43], v[68:69], v[0:1]
	global_load_dwordx4 v[40:43], v45, s[0:1] offset:832
	s_waitcnt vmcnt(0)
	v_mul_f64 v[0:1], v[54:55], v[42:43]
	v_fma_f64 v[210:211], v[52:53], v[40:41], -v[0:1]
	v_mul_f64 v[0:1], v[52:53], v[42:43]
	buffer_store_dword v40, off, s[48:51], 0 offset:576 ; 4-byte Folded Spill
	buffer_store_dword v41, off, s[48:51], 0 offset:580 ; 4-byte Folded Spill
	buffer_store_dword v42, off, s[48:51], 0 offset:584 ; 4-byte Folded Spill
	buffer_store_dword v43, off, s[48:51], 0 offset:588 ; 4-byte Folded Spill
	global_load_dwordx4 v[68:71], v45, s[0:1] offset:848
	v_fma_f64 v[40:41], v[54:55], v[40:41], v[0:1]
	ds_read_b128 v[0:3], v164 offset:2496
	ds_read_b128 v[52:55], v164 offset:2704
	s_waitcnt vmcnt(0) lgkmcnt(1)
	v_mul_f64 v[42:43], v[2:3], v[70:71]
	v_fma_f64 v[222:223], v[0:1], v[68:69], -v[42:43]
	v_mul_f64 v[0:1], v[0:1], v[70:71]
	buffer_store_dword v68, off, s[48:51], 0 offset:560 ; 4-byte Folded Spill
	buffer_store_dword v69, off, s[48:51], 0 offset:564 ; 4-byte Folded Spill
	;; [unrolled: 1-line block ×4, first 2 shown]
	v_fma_f64 v[42:43], v[2:3], v[68:69], v[0:1]
	global_load_dwordx4 v[68:71], v45, s[0:1] offset:864
	s_waitcnt vmcnt(0)
	v_mul_f64 v[0:1], v[22:23], v[70:71]
	v_fma_f64 v[208:209], v[20:21], v[68:69], -v[0:1]
	v_mul_f64 v[0:1], v[20:21], v[70:71]
	buffer_store_dword v68, off, s[48:51], 0 offset:592 ; 4-byte Folded Spill
	buffer_store_dword v69, off, s[48:51], 0 offset:596 ; 4-byte Folded Spill
	;; [unrolled: 1-line block ×4, first 2 shown]
	v_fma_f64 v[200:201], v[22:23], v[68:69], v[0:1]
	global_load_dwordx4 v[68:71], v45, s[0:1] offset:880
	ds_read_b128 v[0:3], v164 offset:4576
	ds_read_b128 v[20:23], v164 offset:4784
	s_waitcnt vmcnt(0) lgkmcnt(1)
	v_mul_f64 v[45:46], v[2:3], v[70:71]
	v_fma_f64 v[220:221], v[0:1], v[68:69], -v[45:46]
	v_mul_f64 v[0:1], v[0:1], v[70:71]
	buffer_store_dword v68, off, s[48:51], 0 offset:608 ; 4-byte Folded Spill
	buffer_store_dword v69, off, s[48:51], 0 offset:612 ; 4-byte Folded Spill
	;; [unrolled: 1-line block ×4, first 2 shown]
	v_fma_f64 v[202:203], v[2:3], v[68:69], v[0:1]
	global_load_dwordx4 v[68:71], v47, s[0:1] offset:832
	ds_read_b128 v[0:3], v164 offset:1664
	ds_read_b128 v[188:191], v164 offset:1872
	s_waitcnt vmcnt(0) lgkmcnt(1)
	v_mul_f64 v[45:46], v[2:3], v[70:71]
	v_fma_f64 v[230:231], v[0:1], v[68:69], -v[45:46]
	v_mul_f64 v[0:1], v[0:1], v[70:71]
	buffer_store_dword v68, off, s[48:51], 0 offset:624 ; 4-byte Folded Spill
	buffer_store_dword v69, off, s[48:51], 0 offset:628 ; 4-byte Folded Spill
	;; [unrolled: 1-line block ×4, first 2 shown]
	v_fma_f64 v[204:205], v[2:3], v[68:69], v[0:1]
	global_load_dwordx4 v[68:71], v47, s[0:1] offset:848
	s_waitcnt vmcnt(0)
	v_mul_f64 v[0:1], v[54:55], v[70:71]
	v_fma_f64 v[238:239], v[52:53], v[68:69], -v[0:1]
	v_mul_f64 v[0:1], v[52:53], v[70:71]
	buffer_store_dword v68, off, s[48:51], 0 offset:640 ; 4-byte Folded Spill
	buffer_store_dword v69, off, s[48:51], 0 offset:644 ; 4-byte Folded Spill
	;; [unrolled: 1-line block ×4, first 2 shown]
	v_fma_f64 v[224:225], v[54:55], v[68:69], v[0:1]
	global_load_dwordx4 v[52:55], v47, s[0:1] offset:864
	ds_read_b128 v[0:3], v164 offset:3744
	ds_read_b128 v[196:199], v164 offset:3952
	s_waitcnt vmcnt(0) lgkmcnt(1)
	v_mul_f64 v[45:46], v[2:3], v[54:55]
	v_fma_f64 v[228:229], v[0:1], v[52:53], -v[45:46]
	v_mul_f64 v[0:1], v[0:1], v[54:55]
	buffer_store_dword v52, off, s[48:51], 0 offset:656 ; 4-byte Folded Spill
	buffer_store_dword v53, off, s[48:51], 0 offset:660 ; 4-byte Folded Spill
	;; [unrolled: 1-line block ×4, first 2 shown]
	v_fma_f64 v[206:207], v[2:3], v[52:53], v[0:1]
	global_load_dwordx4 v[52:55], v47, s[0:1] offset:880
	v_lshlrev_b32_e32 v2, 6, v61
	s_waitcnt vmcnt(0)
	v_mul_f64 v[0:1], v[22:23], v[54:55]
	v_fma_f64 v[236:237], v[20:21], v[52:53], -v[0:1]
	v_mul_f64 v[0:1], v[20:21], v[54:55]
	buffer_store_dword v52, off, s[48:51], 0 offset:672 ; 4-byte Folded Spill
	buffer_store_dword v53, off, s[48:51], 0 offset:676 ; 4-byte Folded Spill
	;; [unrolled: 1-line block ×4, first 2 shown]
	v_fma_f64 v[226:227], v[22:23], v[52:53], v[0:1]
	global_load_dwordx4 v[20:23], v2, s[0:1] offset:832
	s_waitcnt vmcnt(0)
	v_mul_f64 v[0:1], v[190:191], v[22:23]
	v_fma_f64 v[246:247], v[188:189], v[20:21], -v[0:1]
	v_mul_f64 v[0:1], v[188:189], v[22:23]
	buffer_store_dword v20, off, s[48:51], 0 offset:704 ; 4-byte Folded Spill
	buffer_store_dword v21, off, s[48:51], 0 offset:708 ; 4-byte Folded Spill
	;; [unrolled: 1-line block ×4, first 2 shown]
	v_fma_f64 v[232:233], v[190:191], v[20:21], v[0:1]
	global_load_dwordx4 v[20:23], v2, s[0:1] offset:848
	v_mov_b32_e32 v190, v214
	v_mov_b32_e32 v191, v80
	v_lshl_add_u32 v166, v190, 4, v80
	s_waitcnt vmcnt(0)
	v_mul_f64 v[0:1], v[50:51], v[22:23]
	v_fma_f64 v[52:53], v[48:49], v[20:21], -v[0:1]
	v_mul_f64 v[0:1], v[48:49], v[22:23]
	buffer_store_dword v20, off, s[48:51], 0 offset:720 ; 4-byte Folded Spill
	buffer_store_dword v21, off, s[48:51], 0 offset:724 ; 4-byte Folded Spill
	;; [unrolled: 1-line block ×4, first 2 shown]
	global_load_dwordx4 v[192:195], v2, s[0:1] offset:864
	v_fma_f64 v[244:245], v[50:51], v[20:21], v[0:1]
	s_waitcnt vmcnt(0) lgkmcnt(0)
	v_mul_f64 v[0:1], v[198:199], v[194:195]
	v_fma_f64 v[48:49], v[196:197], v[192:193], -v[0:1]
	v_mul_f64 v[0:1], v[196:197], v[194:195]
	v_fma_f64 v[234:235], v[198:199], v[192:193], v[0:1]
	global_load_dwordx4 v[196:199], v2, s[0:1] offset:880
	ds_read_b128 v[0:3], v164 offset:4992
	s_waitcnt vmcnt(0) lgkmcnt(0)
	v_mul_f64 v[20:21], v[2:3], v[198:199]
	v_fma_f64 v[54:55], v[0:1], v[196:197], -v[20:21]
	v_mul_f64 v[0:1], v[0:1], v[198:199]
	ds_read_b128 v[20:23], v164
	ds_read_b128 v[60:63], v164 offset:208
	v_fma_f64 v[50:51], v[2:3], v[196:197], v[0:1]
	v_add_f64 v[0:1], v[16:17], -v[18:19]
	v_add_f64 v[2:3], v[14:15], -v[10:11]
	v_add_f64 v[45:46], v[0:1], v[2:3]
	v_add_f64 v[0:1], v[6:7], -v[12:13]
	v_add_f64 v[2:3], v[8:9], -v[4:5]
	v_add_f64 v[68:69], v[0:1], v[2:3]
	v_add_f64 v[0:1], v[18:19], v[10:11]
	s_waitcnt lgkmcnt(1)
	v_fma_f64 v[70:71], v[0:1], -0.5, v[20:21]
	v_add_f64 v[0:1], v[12:13], v[4:5]
	v_fma_f64 v[84:85], v[0:1], -0.5, v[22:23]
	v_fma_f64 v[0:1], v[86:87], s[18:19], v[70:71]
	v_fma_f64 v[70:71], v[86:87], s[16:17], v[70:71]
	;; [unrolled: 1-line block ×10, first 2 shown]
	v_add_f64 v[45:46], v[16:17], v[14:15]
	v_add_f64 v[70:71], v[24:25], -v[30:31]
	v_fma_f64 v[2:3], v[68:69], s[4:5], v[2:3]
	v_fma_f64 v[250:251], v[68:69], s[4:5], v[84:85]
	v_add_f64 v[68:69], v[6:7], v[8:9]
	v_add_f64 v[84:85], v[26:27], -v[28:29]
	v_fma_f64 v[45:46], v[45:46], -0.5, v[20:21]
	v_add_f64 v[20:21], v[20:21], v[16:17]
	v_add_f64 v[16:17], v[18:19], -v[16:17]
	v_fma_f64 v[68:69], v[68:69], -0.5, v[22:23]
	v_add_f64 v[22:23], v[22:23], v[6:7]
	v_add_f64 v[6:7], v[12:13], -v[6:7]
	v_add_f64 v[18:19], v[20:21], v[18:19]
	v_add_f64 v[20:21], v[22:23], v[12:13]
	v_fma_f64 v[22:23], v[92:93], s[16:17], v[68:69]
	v_add_f64 v[12:13], v[18:19], v[10:11]
	v_add_f64 v[10:11], v[10:11], -v[14:15]
	v_add_f64 v[18:19], v[20:21], v[4:5]
	v_add_f64 v[4:5], v[4:5], -v[8:9]
	v_add_f64 v[12:13], v[12:13], v[14:15]
	v_fma_f64 v[20:21], v[92:93], s[18:19], v[68:69]
	v_add_f64 v[10:11], v[16:17], v[10:11]
	v_add_f64 v[92:93], v[222:223], -v[208:209]
	v_add_f64 v[14:15], v[18:19], v[8:9]
	v_fma_f64 v[8:9], v[88:89], s[16:17], v[45:46]
	v_fma_f64 v[18:19], v[88:89], s[18:19], v[45:46]
	v_add_f64 v[16:17], v[6:7], v[4:5]
	v_fma_f64 v[6:7], v[90:91], s[12:13], v[20:21]
	v_add_f64 v[88:89], v[38:39], -v[32:33]
	v_fma_f64 v[4:5], v[86:87], s[2:3], v[8:9]
	v_fma_f64 v[8:9], v[86:87], s[12:13], v[18:19]
	v_fma_f64 v[18:19], v[90:91], s[2:3], v[22:23]
	v_fma_f64 v[6:7], v[16:17], s[4:5], v[6:7]
	v_add_f64 v[86:87], v[36:37], -v[34:35]
	v_add_f64 v[90:91], v[210:211], -v[220:221]
	v_fma_f64 v[4:5], v[10:11], s[4:5], v[4:5]
	v_fma_f64 v[8:9], v[10:11], s[4:5], v[8:9]
	;; [unrolled: 1-line block ×3, first 2 shown]
	v_add_f64 v[16:17], v[36:37], -v[38:39]
	v_add_f64 v[18:19], v[34:35], -v[32:33]
	v_add_f64 v[20:21], v[16:17], v[18:19]
	v_add_f64 v[16:17], v[24:25], -v[26:27]
	v_add_f64 v[18:19], v[30:31], -v[28:29]
	v_add_f64 v[22:23], v[16:17], v[18:19]
	v_add_f64 v[16:17], v[38:39], v[32:33]
	s_waitcnt lgkmcnt(0)
	v_fma_f64 v[45:46], v[16:17], -0.5, v[60:61]
	v_add_f64 v[16:17], v[26:27], v[28:29]
	v_fma_f64 v[68:69], v[16:17], -0.5, v[62:63]
	v_fma_f64 v[16:17], v[70:71], s[18:19], v[45:46]
	v_fma_f64 v[45:46], v[70:71], s[16:17], v[45:46]
	;; [unrolled: 1-line block ×10, first 2 shown]
	v_add_f64 v[45:46], v[36:37], v[34:35]
	v_fma_f64 v[18:19], v[22:23], s[4:5], v[18:19]
	v_fma_f64 v[22:23], v[22:23], s[4:5], v[68:69]
	v_add_f64 v[68:69], v[24:25], v[30:31]
	v_fma_f64 v[45:46], v[45:46], -0.5, v[60:61]
	v_add_f64 v[60:61], v[60:61], v[36:37]
	v_add_f64 v[36:37], v[38:39], -v[36:37]
	v_fma_f64 v[68:69], v[68:69], -0.5, v[62:63]
	v_add_f64 v[62:63], v[62:63], v[24:25]
	v_add_f64 v[38:39], v[60:61], v[38:39]
	;; [unrolled: 1-line block ×3, first 2 shown]
	v_add_f64 v[62:63], v[26:27], -v[24:25]
	v_add_f64 v[24:25], v[38:39], v[32:33]
	v_add_f64 v[32:33], v[32:33], -v[34:35]
	v_fma_f64 v[38:39], v[88:89], s[18:19], v[68:69]
	v_add_f64 v[26:27], v[60:61], v[28:29]
	v_add_f64 v[28:29], v[28:29], -v[30:31]
	v_add_f64 v[24:25], v[24:25], v[34:35]
	v_fma_f64 v[34:35], v[84:85], s[18:19], v[45:46]
	v_add_f64 v[32:33], v[36:37], v[32:33]
	v_add_f64 v[26:27], v[26:27], v[30:31]
	v_fma_f64 v[30:31], v[84:85], s[16:17], v[45:46]
	v_fma_f64 v[45:46], v[88:89], s[16:17], v[68:69]
	v_add_f64 v[36:37], v[62:63], v[28:29]
	v_fma_f64 v[34:35], v[70:71], s[12:13], v[34:35]
	ds_read_b128 v[60:63], v164 offset:416
	ds_read_b128 v[240:243], v164 offset:624
	v_add_f64 v[88:89], v[42:43], -v[200:201]
	ds_write_b128 v164, v[12:15]
	v_fma_f64 v[28:29], v[70:71], s[2:3], v[30:31]
	v_fma_f64 v[30:31], v[86:87], s[12:13], v[38:39]
	;; [unrolled: 1-line block ×3, first 2 shown]
	v_add_f64 v[86:87], v[40:41], -v[202:203]
	v_fma_f64 v[28:29], v[32:33], s[4:5], v[28:29]
	v_fma_f64 v[30:31], v[36:37], s[4:5], v[30:31]
	;; [unrolled: 1-line block ×4, first 2 shown]
	v_add_f64 v[36:37], v[210:211], -v[222:223]
	v_add_f64 v[38:39], v[220:221], -v[208:209]
	v_add_f64 v[45:46], v[36:37], v[38:39]
	v_add_f64 v[36:37], v[40:41], -v[42:43]
	v_add_f64 v[38:39], v[202:203], -v[200:201]
	v_add_f64 v[68:69], v[36:37], v[38:39]
	v_add_f64 v[36:37], v[222:223], v[208:209]
	s_waitcnt lgkmcnt(2)
	v_fma_f64 v[70:71], v[36:37], -0.5, v[60:61]
	v_add_f64 v[36:37], v[42:43], v[200:201]
	v_fma_f64 v[84:85], v[36:37], -0.5, v[62:63]
	v_fma_f64 v[36:37], v[86:87], s[18:19], v[70:71]
	v_fma_f64 v[70:71], v[86:87], s[16:17], v[70:71]
	;; [unrolled: 1-line block ×10, first 2 shown]
	v_add_f64 v[45:46], v[210:211], v[220:221]
	v_add_f64 v[70:71], v[222:223], -v[210:211]
	v_fma_f64 v[38:39], v[68:69], s[4:5], v[38:39]
	v_fma_f64 v[214:215], v[68:69], s[4:5], v[84:85]
	v_add_f64 v[68:69], v[40:41], v[202:203]
	v_fma_f64 v[45:46], v[45:46], -0.5, v[60:61]
	v_add_f64 v[60:61], v[60:61], v[210:211]
	v_add_f64 v[84:85], v[42:43], -v[40:41]
	v_fma_f64 v[68:69], v[68:69], -0.5, v[62:63]
	v_add_f64 v[62:63], v[62:63], v[40:41]
	v_add_f64 v[60:61], v[60:61], v[222:223]
	v_fma_f64 v[94:95], v[88:89], s[16:17], v[45:46]
	v_fma_f64 v[45:46], v[88:89], s[18:19], v[45:46]
	;; [unrolled: 1-line block ×3, first 2 shown]
	v_add_f64 v[62:63], v[62:63], v[42:43]
	v_add_f64 v[40:41], v[60:61], v[208:209]
	v_add_f64 v[60:61], v[208:209], -v[220:221]
	v_fma_f64 v[68:69], v[92:93], s[16:17], v[68:69]
	v_fma_f64 v[45:46], v[86:87], s[12:13], v[45:46]
	v_add_f64 v[42:43], v[62:63], v[200:201]
	v_add_f64 v[62:63], v[200:201], -v[202:203]
	v_add_f64 v[60:61], v[70:71], v[60:61]
	v_fma_f64 v[70:71], v[86:87], s[2:3], v[94:95]
	v_fma_f64 v[68:69], v[90:91], s[2:3], v[68:69]
	v_add_f64 v[40:41], v[40:41], v[220:221]
	v_add_f64 v[94:95], v[228:229], -v[236:237]
	v_add_f64 v[42:43], v[42:43], v[202:203]
	v_add_f64 v[62:63], v[84:85], v[62:63]
	v_fma_f64 v[84:85], v[90:91], s[12:13], v[88:89]
	v_fma_f64 v[252:253], v[60:61], s[4:5], v[70:71]
	;; [unrolled: 1-line block ×3, first 2 shown]
	v_add_f64 v[45:46], v[230:231], -v[238:239]
	v_add_f64 v[60:61], v[236:237], -v[228:229]
	;; [unrolled: 1-line block ×5, first 2 shown]
	v_fma_f64 v[202:203], v[62:63], s[4:5], v[68:69]
	v_fma_f64 v[254:255], v[62:63], s[4:5], v[84:85]
	v_add_f64 v[62:63], v[226:227], -v[206:207]
	v_add_f64 v[68:69], v[224:225], v[206:207]
	v_add_f64 v[84:85], v[224:225], -v[206:207]
	v_add_f64 v[45:46], v[45:46], v[60:61]
	v_add_f64 v[60:61], v[204:205], -v[224:225]
	ds_write_b128 v166, v[24:27] offset:208
	ds_write_b128 v166, v[40:43] offset:416
	;; [unrolled: 1-line block ×12, first 2 shown]
	s_waitcnt lgkmcnt(13)
	v_fma_f64 v[68:69], v[68:69], -0.5, v[242:243]
	v_add_f64 v[60:61], v[60:61], v[62:63]
	v_add_f64 v[62:63], v[238:239], v[228:229]
	v_fma_f64 v[92:93], v[88:89], s[16:17], v[68:69]
	v_fma_f64 v[68:69], v[88:89], s[18:19], v[68:69]
	v_fma_f64 v[62:63], v[62:63], -0.5, v[240:241]
	v_fma_f64 v[92:93], v[90:91], s[12:13], v[92:93]
	v_fma_f64 v[68:69], v[90:91], s[2:3], v[68:69]
	;; [unrolled: 1-line block ×6, first 2 shown]
	v_add_f64 v[68:69], v[242:243], v[204:205]
	v_add_f64 v[60:61], v[204:205], v[226:227]
	v_fma_f64 v[86:87], v[84:85], s[2:3], v[86:87]
	v_fma_f64 v[62:63], v[84:85], s[12:13], v[62:63]
	v_add_f64 v[92:93], v[224:225], -v[204:205]
	v_add_f64 v[68:69], v[68:69], v[224:225]
	v_fma_f64 v[60:61], v[60:61], -0.5, v[242:243]
	v_fma_f64 v[220:221], v[45:46], s[4:5], v[86:87]
	v_fma_f64 v[208:209], v[45:46], s[4:5], v[62:63]
	v_add_f64 v[62:63], v[240:241], v[230:231]
	v_add_f64 v[45:46], v[230:231], v[236:237]
	v_add_f64 v[86:87], v[238:239], -v[230:231]
	v_add_f64 v[68:69], v[68:69], v[206:207]
	v_add_f64 v[62:63], v[62:63], v[238:239]
	v_fma_f64 v[45:46], v[45:46], -0.5, v[240:241]
	v_add_f64 v[86:87], v[86:87], v[94:95]
	v_add_f64 v[242:243], v[68:69], v[226:227]
	;; [unrolled: 1-line block ×3, first 2 shown]
	v_fma_f64 v[68:69], v[84:85], s[16:17], v[45:46]
	v_fma_f64 v[45:46], v[84:85], s[18:19], v[45:46]
	;; [unrolled: 1-line block ×4, first 2 shown]
	v_add_f64 v[90:91], v[52:53], -v[48:49]
	v_add_f64 v[240:241], v[62:63], v[236:237]
	v_add_f64 v[62:63], v[206:207], -v[226:227]
	v_fma_f64 v[45:46], v[70:71], s[12:13], v[45:46]
	v_fma_f64 v[68:69], v[70:71], s[2:3], v[68:69]
	v_fma_f64 v[60:61], v[88:89], s[2:3], v[60:61]
	v_fma_f64 v[70:71], v[88:89], s[12:13], v[84:85]
	v_add_f64 v[88:89], v[246:247], -v[54:55]
	v_add_f64 v[84:85], v[244:245], -v[234:235]
	v_add_f64 v[62:63], v[92:93], v[62:63]
	v_fma_f64 v[224:225], v[86:87], s[4:5], v[45:46]
	v_add_f64 v[45:46], v[246:247], -v[52:53]
	v_fma_f64 v[236:237], v[86:87], s[4:5], v[68:69]
	v_add_f64 v[68:69], v[244:245], v[234:235]
	v_fma_f64 v[226:227], v[62:63], s[4:5], v[60:61]
	v_add_f64 v[60:61], v[54:55], -v[48:49]
	v_fma_f64 v[238:239], v[62:63], s[4:5], v[70:71]
	v_add_f64 v[62:63], v[50:51], -v[234:235]
	v_fma_f64 v[68:69], v[68:69], -0.5, v[218:219]
	v_add_f64 v[70:71], v[232:233], -v[50:51]
	v_add_f64 v[45:46], v[45:46], v[60:61]
	v_add_f64 v[60:61], v[232:233], -v[244:245]
	v_fma_f64 v[92:93], v[88:89], s[16:17], v[68:69]
	v_fma_f64 v[68:69], v[88:89], s[18:19], v[68:69]
	v_add_f64 v[60:61], v[60:61], v[62:63]
	v_add_f64 v[62:63], v[52:53], v[48:49]
	v_fma_f64 v[92:93], v[90:91], s[12:13], v[92:93]
	v_fma_f64 v[68:69], v[90:91], s[2:3], v[68:69]
	v_fma_f64 v[62:63], v[62:63], -0.5, v[216:217]
	v_fma_f64 v[230:231], v[60:61], s[4:5], v[92:93]
	v_fma_f64 v[206:207], v[60:61], s[4:5], v[68:69]
	v_add_f64 v[68:69], v[218:219], v[232:233]
	v_add_f64 v[60:61], v[232:233], v[50:51]
	v_fma_f64 v[86:87], v[70:71], s[18:19], v[62:63]
	v_fma_f64 v[62:63], v[70:71], s[16:17], v[62:63]
	v_fma_f64 v[60:61], v[60:61], -0.5, v[218:219]
	v_fma_f64 v[86:87], v[84:85], s[2:3], v[86:87]
	v_fma_f64 v[62:63], v[84:85], s[12:13], v[62:63]
	;; [unrolled: 1-line block ×4, first 2 shown]
	v_add_f64 v[62:63], v[216:217], v[246:247]
	v_add_f64 v[45:46], v[246:247], v[54:55]
	v_add_f64 v[86:87], v[52:53], -v[246:247]
	v_add_f64 v[52:53], v[62:63], v[52:53]
	v_add_f64 v[62:63], v[68:69], v[244:245]
	v_fma_f64 v[45:46], v[45:46], -0.5, v[216:217]
	v_add_f64 v[68:69], v[244:245], -v[232:233]
	v_add_f64 v[52:53], v[52:53], v[48:49]
	v_add_f64 v[62:63], v[62:63], v[234:235]
	v_add_f64 v[47:48], v[48:49], -v[54:55]
	v_add_f64 v[244:245], v[52:53], v[54:55]
	v_add_f64 v[246:247], v[62:63], v[50:51]
	v_add_f64 v[49:50], v[234:235], -v[50:51]
	v_fma_f64 v[51:52], v[84:85], s[16:17], v[45:46]
	v_fma_f64 v[53:54], v[90:91], s[18:19], v[60:61]
	;; [unrolled: 1-line block ×4, first 2 shown]
	v_add_f64 v[47:48], v[86:87], v[47:48]
	v_add_f64 v[49:50], v[68:69], v[49:50]
	v_fma_f64 v[51:52], v[70:71], s[2:3], v[51:52]
	v_fma_f64 v[53:54], v[88:89], s[12:13], v[53:54]
	;; [unrolled: 1-line block ×4, first 2 shown]
	s_add_u32 s2, s6, 0x1450
	s_addc_u32 s3, s7, 0
	v_fma_f64 v[232:233], v[47:48], s[4:5], v[51:52]
	v_fma_f64 v[234:235], v[49:50], s[4:5], v[53:54]
	;; [unrolled: 1-line block ×4, first 2 shown]
	ds_write_b128 v166, v[240:243] offset:624
	ds_write_b128 v166, v[244:247] offset:832
	;; [unrolled: 1-line block ×12, first 2 shown]
	s_waitcnt lgkmcnt(0)
	s_waitcnt_vscnt null, 0x0
	s_barrier
	buffer_gl0_inv
	s_clause 0x1
	global_load_dwordx4 v[2:5], v44, s[2:3]
	global_load_dwordx4 v[6:9], v44, s[2:3] offset:400
	ds_read_b128 v[10:13], v164
	ds_read_b128 v[14:17], v164 offset:400
	s_waitcnt vmcnt(1) lgkmcnt(1)
	v_mul_f64 v[0:1], v[12:13], v[4:5]
	v_mul_f64 v[4:5], v[10:11], v[4:5]
	v_fma_f64 v[0:1], v[10:11], v[2:3], -v[0:1]
	v_fma_f64 v[2:3], v[12:13], v[2:3], v[4:5]
	s_waitcnt vmcnt(0) lgkmcnt(0)
	v_mul_f64 v[4:5], v[16:17], v[8:9]
	v_mul_f64 v[8:9], v[14:15], v[8:9]
	v_fma_f64 v[4:5], v[14:15], v[6:7], -v[4:5]
	v_fma_f64 v[6:7], v[16:17], v[6:7], v[8:9]
	s_clause 0x1
	global_load_dwordx4 v[8:11], v44, s[2:3] offset:800
	global_load_dwordx4 v[12:15], v44, s[2:3] offset:1200
	ds_read_b128 v[16:19], v164 offset:800
	ds_read_b128 v[20:23], v164 offset:1200
	s_waitcnt vmcnt(1) lgkmcnt(1)
	v_mul_f64 v[24:25], v[18:19], v[10:11]
	v_mul_f64 v[10:11], v[16:17], v[10:11]
	v_fma_f64 v[16:17], v[16:17], v[8:9], -v[24:25]
	v_fma_f64 v[18:19], v[18:19], v[8:9], v[10:11]
	s_waitcnt vmcnt(0) lgkmcnt(0)
	v_mul_f64 v[8:9], v[22:23], v[14:15]
	v_mul_f64 v[10:11], v[20:21], v[14:15]
	v_fma_f64 v[20:21], v[20:21], v[12:13], -v[8:9]
	v_fma_f64 v[22:23], v[22:23], v[12:13], v[10:11]
	s_clause 0x1
	global_load_dwordx4 v[8:11], v44, s[2:3] offset:1600
	global_load_dwordx4 v[12:15], v44, s[2:3] offset:2000
	ds_read_b128 v[24:27], v164 offset:1600
	ds_read_b128 v[28:31], v164 offset:2000
	s_waitcnt vmcnt(1) lgkmcnt(1)
	v_mul_f64 v[32:33], v[26:27], v[10:11]
	v_mul_f64 v[10:11], v[24:25], v[10:11]
	v_fma_f64 v[24:25], v[24:25], v[8:9], -v[32:33]
	v_fma_f64 v[26:27], v[26:27], v[8:9], v[10:11]
	s_waitcnt vmcnt(0) lgkmcnt(0)
	v_mul_f64 v[10:11], v[28:29], v[14:15]
	v_mul_f64 v[8:9], v[30:31], v[14:15]
	v_fma_f64 v[30:31], v[30:31], v[12:13], v[10:11]
	v_add_co_u32 v10, s0, s2, v44
	v_add_co_ci_u32_e64 v11, null, s3, 0, s0
	v_fma_f64 v[28:29], v[28:29], v[12:13], -v[8:9]
	v_add_co_u32 v8, s0, 0x800, v10
	v_add_co_ci_u32_e64 v9, s0, 0, v11, s0
	s_clause 0x1
	global_load_dwordx4 v[12:15], v[8:9], off offset:352
	global_load_dwordx4 v[32:35], v[8:9], off offset:752
	ds_read_b128 v[36:39], v164 offset:2400
	ds_read_b128 v[40:43], v164 offset:2800
	s_waitcnt vmcnt(1) lgkmcnt(1)
	v_mul_f64 v[44:45], v[38:39], v[14:15]
	v_mul_f64 v[14:15], v[36:37], v[14:15]
	v_fma_f64 v[36:37], v[36:37], v[12:13], -v[44:45]
	v_fma_f64 v[38:39], v[38:39], v[12:13], v[14:15]
	s_waitcnt vmcnt(0) lgkmcnt(0)
	v_mul_f64 v[12:13], v[42:43], v[34:35]
	v_mul_f64 v[14:15], v[40:41], v[34:35]
	v_fma_f64 v[40:41], v[40:41], v[32:33], -v[12:13]
	v_fma_f64 v[42:43], v[42:43], v[32:33], v[14:15]
	s_clause 0x1
	global_load_dwordx4 v[12:15], v[8:9], off offset:1152
	global_load_dwordx4 v[32:35], v[8:9], off offset:1552
	ds_read_b128 v[44:47], v164 offset:3200
	ds_read_b128 v[48:51], v164 offset:3600
	s_waitcnt vmcnt(1) lgkmcnt(1)
	v_mul_f64 v[52:53], v[46:47], v[14:15]
	v_mul_f64 v[14:15], v[44:45], v[14:15]
	v_fma_f64 v[44:45], v[44:45], v[12:13], -v[52:53]
	v_fma_f64 v[46:47], v[46:47], v[12:13], v[14:15]
	s_waitcnt vmcnt(0) lgkmcnt(0)
	v_mul_f64 v[12:13], v[50:51], v[34:35]
	v_mul_f64 v[14:15], v[48:49], v[34:35]
	v_fma_f64 v[48:49], v[48:49], v[32:33], -v[12:13]
	v_add_co_u32 v12, s0, 0x1000, v10
	v_add_co_ci_u32_e64 v13, s0, 0, v11, s0
	v_fma_f64 v[50:51], v[50:51], v[32:33], v[14:15]
	s_clause 0x1
	global_load_dwordx4 v[32:35], v[8:9], off offset:1952
	global_load_dwordx4 v[52:55], v[12:13], off offset:304
	ds_read_b128 v[60:63], v164 offset:4000
	ds_read_b128 v[248:251], v164 offset:4400
	s_waitcnt vmcnt(1) lgkmcnt(1)
	v_mul_f64 v[14:15], v[62:63], v[34:35]
	v_mul_f64 v[34:35], v[60:61], v[34:35]
	v_fma_f64 v[60:61], v[60:61], v[32:33], -v[14:15]
	v_fma_f64 v[62:63], v[62:63], v[32:33], v[34:35]
	s_waitcnt vmcnt(0) lgkmcnt(0)
	v_mul_f64 v[14:15], v[250:251], v[54:55]
	v_mul_f64 v[34:35], v[248:249], v[54:55]
	v_fma_f64 v[32:33], v[248:249], v[52:53], -v[14:15]
	v_fma_f64 v[34:35], v[250:251], v[52:53], v[34:35]
	global_load_dwordx4 v[52:55], v[12:13], off offset:704
	ds_read_b128 v[248:251], v164 offset:4800
	s_waitcnt vmcnt(0) lgkmcnt(0)
	v_mul_f64 v[14:15], v[250:251], v[54:55]
	v_mul_f64 v[54:55], v[248:249], v[54:55]
	v_fma_f64 v[248:249], v[248:249], v[52:53], -v[14:15]
	v_fma_f64 v[250:251], v[250:251], v[52:53], v[54:55]
	ds_write_b128 v164, v[0:3]
	ds_write_b128 v164, v[4:7] offset:400
	ds_write_b128 v164, v[16:19] offset:800
	;; [unrolled: 1-line block ×12, first 2 shown]
	s_and_saveexec_b32 s0, vcc_lo
	s_cbranch_execz .LBB0_9
; %bb.8:
	s_clause 0x9
	global_load_dwordx4 v[0:3], v[10:11], off offset:208
	global_load_dwordx4 v[4:7], v[10:11], off offset:608
	;; [unrolled: 1-line block ×10, first 2 shown]
	v_lshl_or_b32 v46, v190, 4, 0x1200
	s_clause 0x2
	global_load_dwordx4 v[42:45], v[12:13], off offset:112
	global_load_dwordx4 v[46:49], v46, s[2:3]
	global_load_dwordx4 v[50:53], v[12:13], off offset:912
	ds_read_b128 v[60:63], v166 offset:208
	s_waitcnt vmcnt(12) lgkmcnt(0)
	v_mul_f64 v[12:13], v[62:63], v[2:3]
	v_mul_f64 v[2:3], v[60:61], v[2:3]
	v_fma_f64 v[60:61], v[60:61], v[0:1], -v[12:13]
	v_fma_f64 v[62:63], v[62:63], v[0:1], v[2:3]
	ds_write_b128 v166, v[60:63] offset:208
	ds_read_b128 v[0:3], v164 offset:608
	ds_read_b128 v[60:63], v164 offset:1008
	;; [unrolled: 1-line block ×12, first 2 shown]
	s_waitcnt vmcnt(11) lgkmcnt(11)
	v_mul_f64 v[12:13], v[2:3], v[6:7]
	v_mul_f64 v[6:7], v[0:1], v[6:7]
	s_waitcnt vmcnt(10) lgkmcnt(10)
	v_mul_f64 v[54:55], v[62:63], v[16:17]
	v_mul_f64 v[16:17], v[60:61], v[16:17]
	;; [unrolled: 3-line block ×8, first 2 shown]
	v_fma_f64 v[0:1], v[0:1], v[4:5], -v[12:13]
	v_fma_f64 v[2:3], v[2:3], v[4:5], v[6:7]
	v_fma_f64 v[4:5], v[60:61], v[14:15], -v[54:55]
	s_waitcnt vmcnt(3) lgkmcnt(3)
	v_mul_f64 v[54:55], v[98:99], v[10:11]
	v_mul_f64 v[60:61], v[96:97], v[10:11]
	v_fma_f64 v[6:7], v[62:63], v[14:15], v[16:17]
	s_waitcnt vmcnt(2) lgkmcnt(2)
	v_mul_f64 v[62:63], v[102:103], v[44:45]
	v_mul_f64 v[44:45], v[100:101], v[44:45]
	v_fma_f64 v[10:11], v[248:249], v[18:19], -v[112:113]
	s_waitcnt vmcnt(1) lgkmcnt(1)
	v_mul_f64 v[112:113], v[106:107], v[48:49]
	v_mul_f64 v[48:49], v[104:105], v[48:49]
	s_waitcnt vmcnt(0) lgkmcnt(0)
	v_mul_f64 v[248:249], v[110:111], v[52:53]
	v_mul_f64 v[52:53], v[108:109], v[52:53]
	v_fma_f64 v[12:13], v[250:251], v[18:19], v[20:21]
	v_fma_f64 v[14:15], v[252:253], v[22:23], -v[114:115]
	v_fma_f64 v[16:17], v[254:255], v[22:23], v[24:25]
	v_fma_f64 v[18:19], v[68:69], v[26:27], -v[116:117]
	;; [unrolled: 2-line block ×9, first 2 shown]
	v_fma_f64 v[48:49], v[110:111], v[50:51], v[52:53]
	ds_write_b128 v164, v[0:3] offset:608
	ds_write_b128 v164, v[4:7] offset:1008
	;; [unrolled: 1-line block ×12, first 2 shown]
.LBB0_9:
	s_or_b32 exec_lo, exec_lo, s0
	s_waitcnt lgkmcnt(0)
	s_barrier
	buffer_gl0_inv
	ds_read_b128 v[248:251], v164
	ds_read_b128 v[40:43], v164 offset:400
	ds_read_b128 v[36:39], v164 offset:800
	ds_read_b128 v[32:35], v164 offset:1200
	ds_read_b128 v[24:27], v164 offset:1600
	ds_read_b128 v[20:23], v164 offset:2000
	ds_read_b128 v[8:11], v164 offset:2400
	ds_read_b128 v[12:15], v164 offset:2800
	ds_read_b128 v[28:31], v164 offset:3200
	ds_read_b128 v[16:19], v164 offset:3600
	ds_read_b128 v[4:7], v164 offset:4000
	ds_read_b128 v[0:3], v164 offset:4400
	ds_read_b128 v[252:255], v164 offset:4800
	s_and_saveexec_b32 s0, vcc_lo
	s_cbranch_execz .LBB0_11
; %bb.10:
	ds_read_b128 v[200:203], v166 offset:208
	ds_read_b128 v[212:215], v166 offset:608
	;; [unrolled: 1-line block ×13, first 2 shown]
	s_waitcnt lgkmcnt(0)
	buffer_store_dword v44, off, s[48:51], 0 ; 4-byte Folded Spill
	buffer_store_dword v45, off, s[48:51], 0 offset:4 ; 4-byte Folded Spill
	buffer_store_dword v46, off, s[48:51], 0 offset:8 ; 4-byte Folded Spill
	buffer_store_dword v47, off, s[48:51], 0 offset:12 ; 4-byte Folded Spill
.LBB0_11:
	s_or_b32 exec_lo, exec_lo, s0
	s_waitcnt lgkmcnt(11)
	v_add_f64 v[44:45], v[248:249], v[40:41]
	v_add_f64 v[46:47], v[250:251], v[42:43]
	s_waitcnt lgkmcnt(0)
	v_add_f64 v[70:71], v[42:43], -v[254:255]
	v_add_f64 v[84:85], v[42:43], v[254:255]
	s_mov_b32 s0, 0x4267c47c
	s_mov_b32 s2, 0xe00740e9
	;; [unrolled: 1-line block ×4, first 2 shown]
	v_add_f64 v[48:49], v[40:41], v[252:253]
	v_add_f64 v[42:43], v[40:41], -v[252:253]
	v_add_f64 v[40:41], v[38:39], -v[2:3]
	s_mov_b32 s16, 0x42a4c3d2
	s_mov_b32 s4, 0x1ea71119
	;; [unrolled: 1-line block ×6, first 2 shown]
	v_add_f64 v[62:63], v[34:35], v[6:7]
	v_add_f64 v[68:69], v[34:35], -v[6:7]
	s_mov_b32 s38, 0x66966769
	s_mov_b32 s18, 0xebaa3ed8
	;; [unrolled: 1-line block ×3, first 2 shown]
	v_add_f64 v[44:45], v[44:45], v[36:37]
	v_add_f64 v[46:47], v[46:47], v[38:39]
	v_mul_f64 v[86:87], v[70:71], s[0:1]
	v_mul_f64 v[88:89], v[84:85], s[2:3]
	s_mov_b32 s19, 0x3fbedb7d
	s_mov_b32 s27, 0x3fea55e2
	;; [unrolled: 1-line block ×3, first 2 shown]
	v_add_f64 v[94:95], v[26:27], v[18:19]
	v_add_f64 v[96:97], v[26:27], -v[18:19]
	s_mov_b32 s34, 0x2ef20147
	v_mul_f64 v[52:53], v[40:41], s[16:17]
	s_mov_b32 s30, 0xb2365da1
	s_mov_b32 s35, 0xbfedeba7
	;; [unrolled: 1-line block ×5, first 2 shown]
	v_add_f64 v[106:107], v[22:23], -v[30:31]
	s_mov_b32 s28, 0x4bc48dbf
	s_mov_b32 s24, 0xd0032e0c
	;; [unrolled: 1-line block ×5, first 2 shown]
	v_add_f64 v[44:45], v[44:45], v[32:33]
	v_add_f64 v[46:47], v[46:47], v[34:35]
	v_fma_f64 v[90:91], v[48:49], s[2:3], v[86:87]
	v_fma_f64 v[92:93], v[42:43], s[12:13], v[88:89]
	v_add_f64 v[34:35], v[32:33], -v[4:5]
	s_mov_b32 s44, s34
	v_mul_f64 v[108:109], v[70:71], s[38:39]
	v_mul_f64 v[110:111], v[70:71], s[34:35]
	s_mov_b32 s20, 0x93053d00
	s_mov_b32 s21, 0xbfef11f4
	;; [unrolled: 1-line block ×4, first 2 shown]
	v_mul_f64 v[114:115], v[84:85], s[4:5]
	v_mul_f64 v[116:117], v[84:85], s[18:19]
	;; [unrolled: 1-line block ×5, first 2 shown]
	s_mov_b32 s43, 0x3fcea1e5
	s_mov_b32 s42, s28
	v_fma_f64 v[88:89], v[42:43], s[0:1], v[88:89]
	v_mul_f64 v[134:135], v[40:41], s[34:35]
	v_mul_f64 v[138:139], v[68:69], s[28:29]
	v_add_f64 v[44:45], v[44:45], v[24:25]
	v_add_f64 v[46:47], v[46:47], v[26:27]
	;; [unrolled: 1-line block ×4, first 2 shown]
	v_add_f64 v[26:27], v[24:25], -v[16:17]
	v_mul_f64 v[82:83], v[106:107], s[16:17]
	v_mul_f64 v[178:179], v[68:69], s[16:17]
	v_fma_f64 v[124:125], v[48:49], s[30:31], v[110:111]
	s_waitcnt_vscnt null, 0x0
	s_barrier
	buffer_gl0_inv
	v_fma_f64 v[128:129], v[42:43], s[26:27], v[114:115]
	v_fma_f64 v[114:115], v[42:43], s[16:17], v[114:115]
	;; [unrolled: 1-line block ×3, first 2 shown]
	v_add_f64 v[88:89], v[250:251], v[88:89]
	v_add_f64 v[44:45], v[44:45], v[20:21]
	;; [unrolled: 1-line block ×11, first 2 shown]
	v_add_f64 v[36:37], v[36:37], -v[0:1]
	v_add_f64 v[44:45], v[44:45], v[12:13]
	v_add_f64 v[60:61], v[50:51], v[14:15]
	v_mul_f64 v[54:55], v[46:47], s[4:5]
	v_add_f64 v[50:51], v[32:33], v[4:5]
	v_fma_f64 v[102:103], v[38:39], s[4:5], v[52:53]
	v_add_f64 v[32:33], v[24:25], v[16:17]
	v_add_f64 v[24:25], v[10:11], -v[14:15]
	v_add_f64 v[14:15], v[10:11], v[14:15]
	v_add_f64 v[10:11], v[8:9], v[12:13]
	v_add_f64 v[8:9], v[8:9], -v[12:13]
	v_fma_f64 v[52:53], v[38:39], s[4:5], -v[52:53]
	v_add_f64 v[98:99], v[44:45], v[28:29]
	v_add_f64 v[100:101], v[60:61], v[30:31]
	v_mul_f64 v[60:61], v[68:69], s[38:39]
	v_mul_f64 v[44:45], v[62:63], s[18:19]
	v_fma_f64 v[104:105], v[36:37], s[26:27], v[54:55]
	v_add_f64 v[30:31], v[22:23], v[30:31]
	v_add_f64 v[22:23], v[20:21], v[28:29]
	v_add_f64 v[20:21], v[20:21], -v[28:29]
	v_add_f64 v[90:91], v[102:103], v[90:91]
	v_mul_f64 v[122:123], v[14:15], s[20:21]
	v_fma_f64 v[54:55], v[36:37], s[16:17], v[54:55]
	v_add_f64 v[12:13], v[98:99], v[16:17]
	v_add_f64 v[28:29], v[100:101], v[18:19]
	v_mul_f64 v[16:17], v[96:97], s[34:35]
	v_mul_f64 v[18:19], v[94:95], s[30:31]
	v_fma_f64 v[98:99], v[50:51], s[18:19], v[60:61]
	v_fma_f64 v[100:101], v[34:35], s[36:37], v[44:45]
	v_add_f64 v[92:93], v[104:105], v[92:93]
	v_mul_f64 v[104:105], v[70:71], s[16:17]
	v_fma_f64 v[44:45], v[34:35], s[38:39], v[44:45]
	v_add_f64 v[54:55], v[54:55], v[88:89]
	v_add_f64 v[102:103], v[12:13], v[4:5]
	;; [unrolled: 1-line block ×3, first 2 shown]
	v_mul_f64 v[6:7], v[106:107], s[22:23]
	v_mul_f64 v[12:13], v[30:31], s[24:25]
	v_fma_f64 v[112:113], v[32:33], s[30:31], v[16:17]
	v_add_f64 v[90:91], v[98:99], v[90:91]
	v_fma_f64 v[98:99], v[26:27], s[44:45], v[18:19]
	v_add_f64 v[92:93], v[100:101], v[92:93]
	v_mul_f64 v[100:101], v[70:71], s[22:23]
	v_mul_f64 v[70:71], v[70:71], s[28:29]
	;; [unrolled: 1-line block ×3, first 2 shown]
	v_add_f64 v[44:45], v[44:45], v[54:55]
	v_fma_f64 v[16:17], v[32:33], s[30:31], -v[16:17]
	v_fma_f64 v[18:19], v[26:27], s[34:35], v[18:19]
	v_mul_f64 v[54:55], v[14:15], s[2:3]
	v_add_f64 v[0:1], v[102:103], v[0:1]
	v_add_f64 v[2:3], v[28:29], v[2:3]
	v_fma_f64 v[28:29], v[48:49], s[2:3], -v[86:87]
	v_fma_f64 v[86:87], v[48:49], s[4:5], v[104:105]
	v_fma_f64 v[102:103], v[48:49], s[4:5], -v[104:105]
	v_fma_f64 v[104:105], v[48:49], s[18:19], v[108:109]
	;; [unrolled: 2-line block ×3, first 2 shown]
	v_add_f64 v[90:91], v[112:113], v[90:91]
	v_fma_f64 v[112:113], v[20:21], s[40:41], v[12:13]
	v_add_f64 v[92:93], v[98:99], v[92:93]
	v_fma_f64 v[98:99], v[48:49], s[30:31], -v[110:111]
	v_fma_f64 v[110:111], v[48:49], s[24:25], v[100:101]
	v_fma_f64 v[100:101], v[48:49], s[24:25], -v[100:101]
	v_fma_f64 v[130:131], v[48:49], s[20:21], v[70:71]
	;; [unrolled: 2-line block ×3, first 2 shown]
	v_fma_f64 v[116:117], v[42:43], s[38:39], v[116:117]
	v_add_f64 v[18:19], v[18:19], v[44:45]
	v_mul_f64 v[44:45], v[14:15], s[30:31]
	v_fma_f64 v[6:7], v[22:23], s[24:25], -v[6:7]
	v_fma_f64 v[12:13], v[20:21], s[22:23], v[12:13]
	v_add_f64 v[0:1], v[0:1], v[252:253]
	v_add_f64 v[2:3], v[2:3], v[254:255]
	v_fma_f64 v[252:253], v[42:43], s[44:45], v[118:119]
	v_fma_f64 v[118:119], v[42:43], s[34:35], v[118:119]
	;; [unrolled: 1-line block ×5, first 2 shown]
	v_add_f64 v[28:29], v[248:249], v[28:29]
	v_add_f64 v[84:85], v[126:127], v[90:91]
	v_fma_f64 v[90:91], v[10:11], s[20:21], v[4:5]
	v_add_f64 v[92:93], v[112:113], v[92:93]
	v_fma_f64 v[112:113], v[8:9], s[42:43], v[122:123]
	v_add_f64 v[126:127], v[248:249], v[86:87]
	v_add_f64 v[102:103], v[248:249], v[102:103]
	;; [unrolled: 1-line block ×9, first 2 shown]
	v_mul_f64 v[248:249], v[46:47], s[30:31]
	v_add_f64 v[70:71], v[250:251], v[70:71]
	v_add_f64 v[116:117], v[250:251], v[116:117]
	;; [unrolled: 1-line block ×7, first 2 shown]
	v_fma_f64 v[250:251], v[38:39], s[30:31], v[134:135]
	v_add_f64 v[28:29], v[52:53], v[28:29]
	v_add_f64 v[84:85], v[90:91], v[84:85]
	v_mul_f64 v[90:91], v[40:41], s[28:29]
	v_add_f64 v[86:87], v[112:113], v[92:93]
	v_fma_f64 v[52:53], v[50:51], s[18:19], -v[60:61]
	v_fma_f64 v[60:61], v[50:51], s[20:21], -v[138:139]
	v_fma_f64 v[122:123], v[8:9], s[28:29], v[122:123]
	v_fma_f64 v[92:93], v[36:37], s[44:45], v[248:249]
	v_add_f64 v[112:113], v[250:251], v[126:127]
	v_fma_f64 v[126:127], v[38:39], s[20:21], v[90:91]
	v_add_f64 v[28:29], v[52:53], v[28:29]
	v_mul_f64 v[52:53], v[24:25], s[12:13]
	v_add_f64 v[92:93], v[92:93], v[128:129]
	v_mul_f64 v[128:129], v[46:47], s[20:21]
	v_add_f64 v[104:105], v[126:127], v[104:105]
	v_add_f64 v[16:17], v[16:17], v[28:29]
	v_mul_f64 v[28:29], v[24:25], s[34:35]
	v_fma_f64 v[126:127], v[36:37], s[42:43], v[128:129]
	v_add_f64 v[70:71], v[126:127], v[70:71]
	v_mul_f64 v[126:127], v[40:41], s[40:41]
	v_fma_f64 v[250:251], v[38:39], s[24:25], v[126:127]
	;; [unrolled: 3-line block ×3, first 2 shown]
	v_add_f64 v[136:137], v[136:137], v[252:253]
	v_fma_f64 v[252:253], v[50:51], s[20:21], v[138:139]
	v_add_f64 v[112:113], v[252:253], v[112:113]
	v_mul_f64 v[252:253], v[62:63], s[20:21]
	v_fma_f64 v[140:141], v[34:35], s[42:43], v[252:253]
	v_add_f64 v[92:93], v[140:141], v[92:93]
	v_mul_f64 v[140:141], v[68:69], s[44:45]
	;; [unrolled: 3-line block ×4, first 2 shown]
	v_mul_f64 v[68:69], v[68:69], s[22:23]
	v_fma_f64 v[146:147], v[50:51], s[2:3], v[144:145]
	v_add_f64 v[124:125], v[146:147], v[124:125]
	v_mul_f64 v[146:147], v[62:63], s[2:3]
	v_fma_f64 v[148:149], v[34:35], s[0:1], v[146:147]
	v_add_f64 v[136:137], v[148:149], v[136:137]
	;; [unrolled: 3-line block ×10, first 2 shown]
	v_fma_f64 v[92:93], v[22:23], s[4:5], v[82:83]
	v_add_f64 v[92:93], v[92:93], v[104:105]
	v_mul_f64 v[104:105], v[30:31], s[4:5]
	v_fma_f64 v[167:168], v[20:21], s[26:27], v[104:105]
	v_add_f64 v[70:71], v[167:168], v[70:71]
	v_mul_f64 v[167:168], v[106:107], s[42:43]
	;; [unrolled: 3-line block ×4, first 2 shown]
	v_mul_f64 v[40:41], v[40:41], s[12:13]
	v_fma_f64 v[174:175], v[38:39], s[18:19], v[172:173]
	v_add_f64 v[110:111], v[174:175], v[110:111]
	v_mul_f64 v[174:175], v[46:47], s[18:19]
	v_mul_f64 v[46:47], v[46:47], s[2:3]
	v_fma_f64 v[176:177], v[36:37], s[38:39], v[174:175]
	v_add_f64 v[176:177], v[176:177], v[254:255]
	v_fma_f64 v[254:255], v[50:51], s[4:5], v[178:179]
	v_add_f64 v[110:111], v[254:255], v[110:111]
	v_mul_f64 v[254:255], v[62:63], s[4:5]
	v_mul_f64 v[62:63], v[62:63], s[24:25]
	v_fma_f64 v[180:181], v[34:35], s[26:27], v[254:255]
	v_add_f64 v[176:177], v[180:181], v[176:177]
	v_mul_f64 v[180:181], v[96:97], s[42:43]
	v_mul_f64 v[96:97], v[96:97], s[26:27]
	;; [unrolled: 4-line block ×5, first 2 shown]
	v_fma_f64 v[188:189], v[20:21], s[0:1], v[186:187]
	v_add_f64 v[176:177], v[188:189], v[176:177]
	v_fma_f64 v[188:189], v[38:39], s[2:3], v[40:41]
	v_fma_f64 v[40:41], v[38:39], s[2:3], -v[40:41]
	v_add_f64 v[130:131], v[188:189], v[130:131]
	v_fma_f64 v[188:189], v[36:37], s[0:1], v[46:47]
	v_fma_f64 v[46:47], v[36:37], s[12:13], v[46:47]
	v_add_f64 v[40:41], v[40:41], v[48:49]
	v_fma_f64 v[48:49], v[36:37], s[36:37], v[174:175]
	v_add_f64 v[132:133], v[188:189], v[132:133]
	v_add_f64 v[42:43], v[46:47], v[42:43]
	v_fma_f64 v[46:47], v[50:51], s[24:25], -v[68:69]
	v_fma_f64 v[188:189], v[50:51], s[24:25], v[68:69]
	v_add_f64 v[48:49], v[48:49], v[120:121]
	v_fma_f64 v[68:69], v[36:37], s[40:41], v[250:251]
	v_fma_f64 v[120:121], v[20:21], s[42:43], v[170:171]
	v_add_f64 v[40:41], v[46:47], v[40:41]
	v_fma_f64 v[46:47], v[34:35], s[22:23], v[62:63]
	v_add_f64 v[130:131], v[188:189], v[130:131]
	v_fma_f64 v[188:189], v[34:35], s[40:41], v[62:63]
	v_fma_f64 v[62:63], v[50:51], s[4:5], -v[178:179]
	v_add_f64 v[68:69], v[68:69], v[118:119]
	v_fma_f64 v[118:119], v[22:23], s[20:21], -v[167:168]
	v_add_f64 v[42:43], v[46:47], v[42:43]
	;; [unrolled: 2-line block ×3, first 2 shown]
	v_fma_f64 v[188:189], v[32:33], s[4:5], v[96:97]
	v_fma_f64 v[96:97], v[26:27], s[38:39], v[158:159]
	v_add_f64 v[40:41], v[46:47], v[40:41]
	v_fma_f64 v[46:47], v[26:27], s[26:27], v[94:95]
	v_add_f64 v[130:131], v[188:189], v[130:131]
	v_fma_f64 v[188:189], v[26:27], s[16:17], v[94:95]
	v_fma_f64 v[94:95], v[50:51], s[2:3], -v[144:145]
	v_fma_f64 v[50:51], v[50:51], s[30:31], -v[140:141]
	v_add_f64 v[42:43], v[46:47], v[42:43]
	v_fma_f64 v[46:47], v[38:39], s[18:19], -v[172:173]
	v_add_f64 v[132:133], v[188:189], v[132:133]
	v_fma_f64 v[188:189], v[22:23], s[30:31], v[106:107]
	v_fma_f64 v[106:107], v[22:23], s[30:31], -v[106:107]
	v_add_f64 v[46:47], v[46:47], v[100:101]
	v_mul_f64 v[100:101], v[14:15], s[24:25]
	v_add_f64 v[130:131], v[188:189], v[130:131]
	v_add_f64 v[40:41], v[106:107], v[40:41]
	v_add_f64 v[46:47], v[62:63], v[46:47]
	v_fma_f64 v[62:63], v[34:35], s[16:17], v[254:255]
	v_add_f64 v[48:49], v[62:63], v[48:49]
	v_fma_f64 v[62:63], v[32:33], s[20:21], -v[180:181]
	v_add_f64 v[46:47], v[62:63], v[46:47]
	v_fma_f64 v[62:63], v[26:27], s[42:43], v[182:183]
	v_add_f64 v[48:49], v[62:63], v[48:49]
	v_fma_f64 v[62:63], v[38:39], s[24:25], -v[126:127]
	v_fma_f64 v[126:127], v[22:23], s[18:19], -v[160:161]
	v_add_f64 v[62:63], v[62:63], v[98:99]
	v_fma_f64 v[98:99], v[32:33], s[24:25], -v[148:149]
	v_add_f64 v[62:63], v[94:95], v[62:63]
	v_fma_f64 v[94:95], v[34:35], s[12:13], v[146:147]
	v_add_f64 v[68:69], v[94:95], v[68:69]
	v_fma_f64 v[94:95], v[32:33], s[18:19], -v[156:157]
	v_fma_f64 v[32:33], v[32:33], s[2:3], -v[152:153]
	v_add_f64 v[68:69], v[96:97], v[68:69]
	v_add_f64 v[62:63], v[94:95], v[62:63]
	v_fma_f64 v[94:95], v[38:39], s[30:31], -v[134:135]
	v_fma_f64 v[38:39], v[38:39], s[20:21], -v[90:91]
	v_fma_f64 v[90:91], v[36:37], s[34:35], v[248:249]
	v_fma_f64 v[36:37], v[36:37], s[28:29], v[128:129]
	;; [unrolled: 1-line block ×3, first 2 shown]
	v_fma_f64 v[28:29], v[10:11], s[30:31], -v[28:29]
	v_add_f64 v[68:69], v[120:121], v[68:69]
	v_add_f64 v[62:63], v[118:119], v[62:63]
	;; [unrolled: 1-line block ×3, first 2 shown]
	v_fma_f64 v[94:95], v[34:35], s[28:29], v[252:253]
	v_fma_f64 v[34:35], v[34:35], s[44:45], v[142:143]
	v_add_f64 v[90:91], v[90:91], v[114:115]
	v_add_f64 v[38:39], v[38:39], v[108:109]
	;; [unrolled: 1-line block ×3, first 2 shown]
	v_mul_f64 v[102:103], v[24:25], s[26:27]
	v_mul_f64 v[108:109], v[14:15], s[4:5]
	;; [unrolled: 1-line block ×3, first 2 shown]
	v_fma_f64 v[114:115], v[22:23], s[2:3], -v[184:185]
	v_fma_f64 v[116:117], v[20:21], s[12:13], v[186:187]
	v_fma_f64 v[22:23], v[22:23], s[4:5], -v[82:83]
	v_fma_f64 v[82:83], v[20:21], s[36:37], v[162:163]
	v_fma_f64 v[120:121], v[10:11], s[20:21], -v[4:5]
	v_add_f64 v[60:61], v[60:61], v[88:89]
	v_mul_f64 v[88:89], v[24:25], s[22:23]
	v_mul_f64 v[24:25], v[24:25], s[36:37]
	v_add_f64 v[90:91], v[94:95], v[90:91]
	v_fma_f64 v[94:95], v[26:27], s[40:41], v[150:151]
	v_add_f64 v[38:39], v[50:51], v[38:39]
	v_add_f64 v[34:35], v[34:35], v[36:37]
	v_fma_f64 v[26:27], v[26:27], s[12:13], v[154:155]
	v_fma_f64 v[50:51], v[10:11], s[2:3], v[52:53]
	v_fma_f64 v[36:37], v[8:9], s[0:1], v[54:55]
	v_fma_f64 v[106:107], v[8:9], s[38:39], v[14:15]
	v_add_f64 v[46:47], v[114:115], v[46:47]
	v_add_f64 v[48:49], v[116:117], v[48:49]
	v_fma_f64 v[52:53], v[10:11], s[2:3], -v[52:53]
	v_fma_f64 v[54:55], v[8:9], s[12:13], v[54:55]
	v_add_f64 v[114:115], v[6:7], v[16:17]
	v_add_f64 v[116:117], v[12:13], v[18:19]
	;; [unrolled: 1-line block ×4, first 2 shown]
	v_fma_f64 v[98:99], v[20:21], s[44:45], v[30:31]
	v_fma_f64 v[30:31], v[20:21], s[34:35], v[30:31]
	;; [unrolled: 1-line block ×3, first 2 shown]
	v_add_f64 v[90:91], v[94:95], v[90:91]
	v_add_f64 v[32:33], v[32:33], v[38:39]
	v_fma_f64 v[96:97], v[10:11], s[24:25], v[88:89]
	v_add_f64 v[26:27], v[26:27], v[34:35]
	v_fma_f64 v[94:95], v[8:9], s[40:41], v[100:101]
	v_fma_f64 v[38:39], v[10:11], s[4:5], v[102:103]
	;; [unrolled: 1-line block ×5, first 2 shown]
	v_fma_f64 v[102:103], v[10:11], s[4:5], -v[102:103]
	v_fma_f64 v[108:109], v[8:9], s[26:27], v[108:109]
	v_fma_f64 v[88:89], v[10:11], s[24:25], -v[88:89]
	v_fma_f64 v[100:101], v[8:9], s[22:23], v[100:101]
	v_add_f64 v[4:5], v[50:51], v[112:113]
	v_add_f64 v[6:7], v[36:37], v[80:81]
	;; [unrolled: 1-line block ×6, first 2 shown]
	v_fma_f64 v[132:133], v[10:11], s[18:19], v[24:25]
	v_add_f64 v[30:31], v[30:31], v[42:43]
	v_fma_f64 v[24:25], v[10:11], s[18:19], -v[24:25]
	v_fma_f64 v[42:43], v[8:9], s[36:37], v[14:15]
	v_add_f64 v[82:83], v[82:83], v[90:91]
	v_add_f64 v[90:91], v[22:23], v[32:33]
	;; [unrolled: 1-line block ×20, first 2 shown]
	v_add_nc_u32_e32 v48, 0x340, v164
	ds_write_b128 v165, v[0:3]
	ds_write_b128 v165, v[84:87] offset:16
	ds_write_b128 v165, v[4:7] offset:32
	;; [unrolled: 1-line block ×12, first 2 shown]
	s_and_saveexec_b32 s33, vcc_lo
	s_cbranch_execz .LBB0_13
; %bb.12:
	s_clause 0x3
	buffer_load_dword v132, off, s[48:51], 0
	buffer_load_dword v133, off, s[48:51], 0 offset:4
	buffer_load_dword v134, off, s[48:51], 0 offset:8
	buffer_load_dword v135, off, s[48:51], 0 offset:12
	v_add_f64 v[12:13], v[202:203], v[214:215]
	v_add_f64 v[14:15], v[200:201], v[212:213]
	v_add_f64 v[6:7], v[240:241], -v[204:205]
	v_add_f64 v[4:5], v[242:243], -v[206:207]
	v_add_f64 v[18:19], v[220:221], -v[216:217]
	v_add_f64 v[16:17], v[222:223], -v[218:219]
	v_add_f64 v[24:25], v[12:13], v[242:243]
	v_add_f64 v[26:27], v[14:15], v[240:241]
	;; [unrolled: 1-line block ×4, first 2 shown]
	v_mul_f64 v[28:29], v[6:7], s[12:13]
	v_mul_f64 v[32:33], v[4:5], s[12:13]
	;; [unrolled: 1-line block ×10, first 2 shown]
	v_add_f64 v[40:41], v[24:25], v[222:223]
	v_add_f64 v[42:43], v[26:27], v[220:221]
	v_add_f64 v[26:27], v[236:237], -v[232:233]
	v_add_f64 v[24:25], v[238:239], -v[234:235]
	v_fma_f64 v[49:50], v[14:15], s[2:3], v[28:29]
	v_fma_f64 v[53:54], v[12:13], s[2:3], -v[32:33]
	v_fma_f64 v[28:29], v[14:15], s[2:3], -v[28:29]
	v_fma_f64 v[68:69], v[12:13], s[2:3], v[32:33]
	v_add_f64 v[32:33], v[236:237], v[232:233]
	v_fma_f64 v[108:109], v[14:15], s[18:19], v[94:95]
	v_fma_f64 v[94:95], v[14:15], s[18:19], -v[94:95]
	v_add_f64 v[40:41], v[40:41], v[238:239]
	v_add_f64 v[42:43], v[42:43], v[236:237]
	v_mul_f64 v[70:71], v[26:27], s[26:27]
	v_mul_f64 v[80:81], v[24:25], s[26:27]
	;; [unrolled: 1-line block ×3, first 2 shown]
	v_add_f64 v[84:85], v[40:41], v[226:227]
	v_add_f64 v[42:43], v[42:43], v[224:225]
	v_add_f64 v[40:41], v[210:211], -v[246:247]
	v_mul_f64 v[100:101], v[40:41], s[36:37]
	s_waitcnt vmcnt(2)
	v_add_f64 v[0:1], v[212:213], -v[132:133]
	s_waitcnt vmcnt(0)
	v_add_f64 v[2:3], v[214:215], -v[134:135]
	v_add_f64 v[10:11], v[214:215], v[134:135]
	v_add_f64 v[8:9], v[212:213], v[132:133]
	v_mul_f64 v[20:21], v[0:1], s[28:29]
	v_mul_f64 v[22:23], v[2:3], s[28:29]
	;; [unrolled: 1-line block ×4, first 2 shown]
	v_fma_f64 v[30:31], v[10:11], s[20:21], v[20:21]
	v_fma_f64 v[34:35], v[8:9], s[20:21], -v[22:23]
	v_fma_f64 v[36:37], v[10:11], s[20:21], -v[20:21]
	v_fma_f64 v[38:39], v[8:9], s[20:21], v[22:23]
	v_add_f64 v[22:23], v[222:223], v[218:219]
	v_add_f64 v[20:21], v[220:221], v[216:217]
	v_fma_f64 v[96:97], v[10:11], s[24:25], v[86:87]
	v_fma_f64 v[86:87], v[10:11], s[24:25], -v[86:87]
	v_add_f64 v[51:52], v[202:203], v[30:31]
	v_add_f64 v[60:61], v[200:201], v[34:35]
	;; [unrolled: 1-line block ×4, first 2 shown]
	v_add_f64 v[34:35], v[224:225], -v[228:229]
	v_add_f64 v[36:37], v[238:239], v[234:235]
	v_add_f64 v[30:31], v[226:227], -v[230:231]
	v_fma_f64 v[82:83], v[22:23], s[24:25], v[44:45]
	v_add_f64 v[96:97], v[202:203], v[96:97]
	v_add_f64 v[86:87], v[202:203], v[86:87]
	;; [unrolled: 1-line block ×3, first 2 shown]
	v_fma_f64 v[51:52], v[20:21], s[24:25], -v[46:47]
	v_add_f64 v[53:54], v[53:54], v[60:61]
	v_fma_f64 v[60:61], v[22:23], s[24:25], -v[44:45]
	v_add_f64 v[62:63], v[28:29], v[62:63]
	v_fma_f64 v[46:47], v[20:21], s[24:25], v[46:47]
	v_add_f64 v[68:69], v[68:69], v[38:39]
	v_add_f64 v[28:29], v[208:209], -v[244:245]
	v_add_f64 v[38:39], v[226:227], v[230:231]
	v_add_f64 v[44:45], v[224:225], v[228:229]
	v_mul_f64 v[88:89], v[34:35], s[34:35]
	v_mul_f64 v[90:91], v[30:31], s[34:35]
	v_fma_f64 v[92:93], v[36:37], s[4:5], v[70:71]
	v_add_f64 v[96:97], v[108:109], v[96:97]
	v_fma_f64 v[108:109], v[22:23], s[4:5], v[106:107]
	v_add_f64 v[86:87], v[94:95], v[86:87]
	v_fma_f64 v[106:107], v[22:23], s[4:5], -v[106:107]
	v_mul_f64 v[94:95], v[34:35], s[12:13]
	v_add_f64 v[49:50], v[82:83], v[49:50]
	v_fma_f64 v[82:83], v[32:33], s[4:5], -v[80:81]
	v_add_f64 v[51:52], v[51:52], v[53:54]
	v_fma_f64 v[53:54], v[36:37], s[4:5], -v[70:71]
	v_add_f64 v[60:61], v[60:61], v[62:63]
	v_mul_f64 v[62:63], v[2:3], s[22:23]
	v_fma_f64 v[70:71], v[32:33], s[4:5], v[80:81]
	v_add_f64 v[68:69], v[46:47], v[68:69]
	v_add_f64 v[80:81], v[84:85], v[210:211]
	;; [unrolled: 1-line block ×5, first 2 shown]
	v_mul_f64 v[98:99], v[28:29], s[36:37]
	v_fma_f64 v[102:103], v[38:39], s[30:31], v[88:89]
	v_add_f64 v[96:97], v[108:109], v[96:97]
	v_fma_f64 v[108:109], v[36:37], s[20:21], v[118:119]
	v_fma_f64 v[118:119], v[36:37], s[20:21], -v[118:119]
	v_add_f64 v[86:87], v[106:107], v[86:87]
	v_mul_f64 v[106:107], v[30:31], s[12:13]
	v_add_f64 v[49:50], v[92:93], v[49:50]
	v_fma_f64 v[92:93], v[44:45], s[30:31], -v[90:91]
	v_add_f64 v[51:52], v[82:83], v[51:52]
	v_fma_f64 v[82:83], v[38:39], s[30:31], -v[88:89]
	v_add_f64 v[53:54], v[53:54], v[60:61]
	v_mul_f64 v[60:61], v[4:5], s[36:37]
	v_fma_f64 v[88:89], v[8:9], s[24:25], -v[62:63]
	v_fma_f64 v[90:91], v[44:45], s[30:31], v[90:91]
	v_add_f64 v[68:69], v[70:71], v[68:69]
	v_mul_f64 v[70:71], v[2:3], s[34:35]
	v_fma_f64 v[62:63], v[8:9], s[24:25], v[62:63]
	v_fma_f64 v[116:117], v[46:47], s[18:19], -v[100:101]
	v_fma_f64 v[100:101], v[46:47], s[18:19], v[100:101]
	v_add_f64 v[80:81], v[80:81], v[246:247]
	v_add_f64 v[84:85], v[84:85], v[244:245]
	;; [unrolled: 1-line block ×3, first 2 shown]
	v_fma_f64 v[108:109], v[38:39], s[2:3], v[94:95]
	v_add_f64 v[86:87], v[118:119], v[86:87]
	v_fma_f64 v[118:119], v[44:45], s[2:3], -v[106:107]
	v_fma_f64 v[94:95], v[38:39], s[2:3], -v[94:95]
	v_fma_f64 v[106:107], v[44:45], s[2:3], v[106:107]
	v_add_f64 v[49:50], v[102:103], v[49:50]
	v_fma_f64 v[102:103], v[42:43], s[18:19], v[98:99]
	v_add_f64 v[92:93], v[92:93], v[51:52]
	v_fma_f64 v[98:99], v[42:43], s[18:19], -v[98:99]
	v_add_f64 v[53:54], v[82:83], v[53:54]
	v_fma_f64 v[82:83], v[12:13], s[18:19], -v[60:61]
	v_add_f64 v[88:89], v[200:201], v[88:89]
	v_fma_f64 v[122:123], v[12:13], s[18:19], v[60:61]
	v_add_f64 v[68:69], v[90:91], v[68:69]
	v_fma_f64 v[90:91], v[10:11], s[30:31], v[104:105]
	v_fma_f64 v[120:121], v[8:9], s[30:31], -v[70:71]
	v_fma_f64 v[104:105], v[10:11], s[30:31], -v[104:105]
	v_add_f64 v[124:125], v[200:201], v[62:63]
	v_fma_f64 v[70:71], v[8:9], s[30:31], v[70:71]
	v_add_f64 v[80:81], v[80:81], v[230:231]
	v_add_f64 v[84:85], v[84:85], v[228:229]
	;; [unrolled: 1-line block ×6, first 2 shown]
	v_mul_f64 v[92:93], v[24:25], s[42:43]
	v_mul_f64 v[102:103], v[18:19], s[12:13]
	v_add_f64 v[62:63], v[98:99], v[53:54]
	v_add_f64 v[82:83], v[82:83], v[88:89]
	v_fma_f64 v[88:89], v[20:21], s[4:5], -v[110:111]
	v_add_f64 v[60:61], v[100:101], v[68:69]
	v_fma_f64 v[53:54], v[14:15], s[24:25], v[112:113]
	v_add_f64 v[68:69], v[202:203], v[90:91]
	v_fma_f64 v[90:91], v[12:13], s[24:25], -v[114:115]
	v_fma_f64 v[98:99], v[14:15], s[24:25], -v[112:113]
	v_add_f64 v[100:101], v[200:201], v[120:121]
	v_add_f64 v[104:105], v[202:203], v[104:105]
	;; [unrolled: 1-line block ×3, first 2 shown]
	v_mul_f64 v[116:117], v[0:1], s[38:39]
	v_fma_f64 v[110:111], v[20:21], s[4:5], v[110:111]
	v_fma_f64 v[114:115], v[12:13], s[24:25], v[114:115]
	v_add_f64 v[70:71], v[200:201], v[70:71]
	v_mul_f64 v[122:123], v[18:19], s[44:45]
	v_add_f64 v[80:81], v[80:81], v[234:235]
	v_add_f64 v[84:85], v[84:85], v[232:233]
	;; [unrolled: 1-line block ×3, first 2 shown]
	v_fma_f64 v[88:89], v[32:33], s[20:21], -v[92:93]
	v_fma_f64 v[92:93], v[32:33], s[20:21], v[92:93]
	v_add_f64 v[53:54], v[53:54], v[68:69]
	v_fma_f64 v[68:69], v[22:23], s[2:3], v[102:103]
	v_fma_f64 v[102:103], v[22:23], s[2:3], -v[102:103]
	v_add_f64 v[90:91], v[90:91], v[100:101]
	v_mul_f64 v[100:101], v[6:7], s[28:29]
	v_add_f64 v[98:99], v[98:99], v[104:105]
	v_fma_f64 v[104:105], v[10:11], s[18:19], v[116:117]
	v_add_f64 v[110:111], v[110:111], v[112:113]
	v_mul_f64 v[112:113], v[16:17], s[12:13]
	v_add_f64 v[70:71], v[114:115], v[70:71]
	v_fma_f64 v[116:117], v[10:11], s[18:19], -v[116:117]
	v_add_f64 v[80:81], v[80:81], v[218:219]
	v_add_f64 v[84:85], v[84:85], v[216:217]
	;; [unrolled: 1-line block ×3, first 2 shown]
	v_mul_f64 v[88:89], v[26:27], s[38:39]
	v_add_f64 v[53:54], v[68:69], v[53:54]
	v_mul_f64 v[68:69], v[2:3], s[38:39]
	v_fma_f64 v[108:109], v[14:15], s[20:21], v[100:101]
	v_add_f64 v[98:99], v[102:103], v[98:99]
	v_add_f64 v[104:105], v[202:203], v[104:105]
	;; [unrolled: 1-line block ×3, first 2 shown]
	v_fma_f64 v[120:121], v[20:21], s[2:3], -v[112:113]
	v_fma_f64 v[110:111], v[22:23], s[30:31], v[122:123]
	v_fma_f64 v[100:101], v[14:15], s[20:21], -v[100:101]
	v_add_f64 v[116:117], v[202:203], v[116:117]
	v_add_f64 v[80:81], v[80:81], v[206:207]
	;; [unrolled: 1-line block ×4, first 2 shown]
	v_fma_f64 v[94:95], v[36:37], s[18:19], v[88:89]
	v_mul_f64 v[118:119], v[4:5], s[28:29]
	v_fma_f64 v[88:89], v[36:37], s[18:19], -v[88:89]
	v_fma_f64 v[114:115], v[8:9], s[18:19], -v[68:69]
	v_fma_f64 v[68:69], v[8:9], s[18:19], v[68:69]
	v_add_f64 v[104:105], v[108:109], v[104:105]
	v_fma_f64 v[108:109], v[20:21], s[2:3], v[112:113]
	v_add_f64 v[90:91], v[120:121], v[90:91]
	v_mul_f64 v[112:113], v[24:25], s[38:39]
	v_mul_f64 v[120:121], v[34:35], s[42:43]
	v_add_f64 v[92:93], v[106:107], v[92:93]
	v_mul_f64 v[106:107], v[26:27], s[12:13]
	v_add_f64 v[53:54], v[94:95], v[53:54]
	v_fma_f64 v[94:95], v[12:13], s[20:21], -v[118:119]
	v_add_f64 v[88:89], v[88:89], v[98:99]
	v_add_f64 v[114:115], v[200:201], v[114:115]
	;; [unrolled: 1-line block ×3, first 2 shown]
	v_mul_f64 v[100:101], v[34:35], s[16:17]
	v_add_f64 v[68:69], v[200:201], v[68:69]
	v_add_f64 v[102:103], v[110:111], v[104:105]
	;; [unrolled: 1-line block ×3, first 2 shown]
	v_mul_f64 v[110:111], v[16:17], s[44:45]
	v_fma_f64 v[104:105], v[32:33], s[18:19], -v[112:113]
	v_fma_f64 v[108:109], v[38:39], s[20:21], v[120:121]
	v_mul_f64 v[16:17], v[16:17], s[38:39]
	v_add_f64 v[94:95], v[94:95], v[114:115]
	v_mul_f64 v[114:115], v[30:31], s[42:43]
	v_add_f64 v[90:91], v[104:105], v[90:91]
	v_add_f64 v[53:54], v[108:109], v[53:54]
	v_fma_f64 v[104:105], v[32:33], s[18:19], v[112:113]
	v_fma_f64 v[108:109], v[36:37], s[2:3], v[106:107]
	v_fma_f64 v[112:113], v[20:21], s[30:31], -v[110:111]
	v_fma_f64 v[106:107], v[36:37], s[2:3], -v[106:107]
	v_fma_f64 v[110:111], v[20:21], s[30:31], v[110:111]
	v_fma_f64 v[116:117], v[44:45], s[20:21], -v[114:115]
	v_fma_f64 v[114:115], v[44:45], s[20:21], v[114:115]
	v_add_f64 v[70:71], v[104:105], v[70:71]
	v_add_f64 v[102:103], v[108:109], v[102:103]
	;; [unrolled: 1-line block ×3, first 2 shown]
	v_fma_f64 v[104:105], v[22:23], s[30:31], -v[122:123]
	v_fma_f64 v[108:109], v[38:39], s[20:21], -v[120:121]
	v_fma_f64 v[112:113], v[12:13], s[20:21], v[118:119]
	v_mul_f64 v[118:119], v[24:25], s[12:13]
	v_fma_f64 v[120:121], v[38:39], s[4:5], v[100:101]
	v_mul_f64 v[122:123], v[2:3], s[0:1]
	v_mul_f64 v[2:3], v[2:3], s[16:17]
	v_fma_f64 v[100:101], v[38:39], s[4:5], -v[100:101]
	v_add_f64 v[90:91], v[116:117], v[90:91]
	v_mul_f64 v[116:117], v[0:1], s[16:17]
	v_mul_f64 v[0:1], v[0:1], s[0:1]
	v_add_f64 v[70:71], v[114:115], v[70:71]
	v_add_f64 v[98:99], v[104:105], v[98:99]
	;; [unrolled: 1-line block ×4, first 2 shown]
	v_fma_f64 v[104:105], v[32:33], s[2:3], -v[118:119]
	v_add_f64 v[102:103], v[120:121], v[102:103]
	v_fma_f64 v[114:115], v[8:9], s[2:3], v[122:123]
	v_fma_f64 v[120:121], v[8:9], s[4:5], v[2:3]
	v_fma_f64 v[2:3], v[8:9], s[4:5], -v[2:3]
	v_fma_f64 v[8:9], v[8:9], s[2:3], -v[122:123]
	v_mul_f64 v[122:123], v[4:5], s[16:17]
	v_mul_f64 v[4:5], v[4:5], s[34:35]
	v_fma_f64 v[108:109], v[10:11], s[4:5], -v[116:117]
	v_fma_f64 v[112:113], v[10:11], s[2:3], -v[0:1]
	v_fma_f64 v[116:117], v[10:11], s[4:5], v[116:117]
	v_fma_f64 v[0:1], v[10:11], s[2:3], v[0:1]
	v_mul_f64 v[10:11], v[6:7], s[34:35]
	v_mul_f64 v[6:7], v[6:7], s[16:17]
	v_add_f64 v[98:99], v[106:107], v[98:99]
	v_add_f64 v[68:69], v[110:111], v[68:69]
	;; [unrolled: 1-line block ×3, first 2 shown]
	v_mul_f64 v[104:105], v[18:19], s[28:29]
	v_mul_f64 v[18:19], v[18:19], s[38:39]
	v_mul_f64 v[110:111], v[40:41], s[34:35]
	v_add_f64 v[2:3], v[200:201], v[2:3]
	v_add_f64 v[8:9], v[200:201], v[8:9]
	v_fma_f64 v[126:127], v[12:13], s[4:5], v[122:123]
	v_fma_f64 v[128:129], v[12:13], s[30:31], v[4:5]
	v_fma_f64 v[4:5], v[12:13], s[30:31], -v[4:5]
	v_add_f64 v[106:107], v[202:203], v[108:109]
	v_add_f64 v[108:109], v[202:203], v[112:113]
	;; [unrolled: 1-line block ×5, first 2 shown]
	v_fma_f64 v[120:121], v[14:15], s[30:31], -v[10:11]
	v_fma_f64 v[124:125], v[14:15], s[4:5], -v[6:7]
	v_add_f64 v[0:1], v[202:203], v[0:1]
	v_fma_f64 v[10:11], v[14:15], s[30:31], v[10:11]
	v_fma_f64 v[6:7], v[14:15], s[4:5], v[6:7]
	v_fma_f64 v[12:13], v[12:13], s[4:5], -v[122:123]
	v_mul_f64 v[14:15], v[28:29], s[34:35]
	v_fma_f64 v[122:123], v[22:23], s[20:21], -v[104:105]
	v_fma_f64 v[104:105], v[22:23], s[20:21], v[104:105]
	v_add_f64 v[2:3], v[4:5], v[2:3]
	v_mul_f64 v[4:5], v[24:25], s[34:35]
	v_mul_f64 v[24:25], v[24:25], s[40:41]
	v_add_f64 v[112:113], v[126:127], v[112:113]
	v_add_f64 v[114:115], v[128:129], v[114:115]
	v_fma_f64 v[126:127], v[22:23], s[18:19], -v[18:19]
	v_add_f64 v[106:107], v[120:121], v[106:107]
	v_add_f64 v[108:109], v[124:125], v[108:109]
	v_mul_f64 v[120:121], v[26:27], s[40:41]
	v_fma_f64 v[124:125], v[20:21], s[20:21], v[130:131]
	v_mul_f64 v[26:27], v[26:27], s[34:35]
	v_fma_f64 v[128:129], v[20:21], s[18:19], v[16:17]
	v_add_f64 v[10:11], v[10:11], v[116:117]
	v_fma_f64 v[116:117], v[20:21], s[20:21], -v[130:131]
	v_fma_f64 v[18:19], v[22:23], s[18:19], v[18:19]
	v_add_f64 v[0:1], v[6:7], v[0:1]
	v_fma_f64 v[16:17], v[20:21], s[18:19], -v[16:17]
	v_add_f64 v[8:9], v[12:13], v[8:9]
	v_fma_f64 v[20:21], v[46:47], s[30:31], -v[110:111]
	v_fma_f64 v[22:23], v[46:47], s[30:31], v[110:111]
	v_fma_f64 v[110:111], v[32:33], s[2:3], v[118:119]
	v_mul_f64 v[12:13], v[28:29], s[26:27]
	v_fma_f64 v[6:7], v[42:43], s[30:31], v[14:15]
	v_fma_f64 v[14:15], v[42:43], s[30:31], -v[14:15]
	v_add_f64 v[106:107], v[122:123], v[106:107]
	v_add_f64 v[108:109], v[126:127], v[108:109]
	v_fma_f64 v[118:119], v[36:37], s[24:25], -v[120:121]
	v_mul_f64 v[122:123], v[34:35], s[36:37]
	v_fma_f64 v[126:127], v[36:37], s[30:31], -v[26:27]
	v_add_f64 v[114:115], v[124:125], v[114:115]
	v_add_f64 v[10:11], v[104:105], v[10:11]
	v_fma_f64 v[104:105], v[32:33], s[24:25], v[24:25]
	v_add_f64 v[2:3], v[116:117], v[2:3]
	v_mul_f64 v[116:117], v[30:31], s[36:37]
	v_fma_f64 v[120:121], v[36:37], s[24:25], v[120:121]
	v_fma_f64 v[26:27], v[36:37], s[30:31], v[26:27]
	v_mul_f64 v[34:35], v[34:35], s[22:23]
	v_fma_f64 v[24:25], v[32:33], s[24:25], -v[24:25]
	v_add_f64 v[0:1], v[18:19], v[0:1]
	v_mul_f64 v[18:19], v[30:31], s[22:23]
	v_mul_f64 v[30:31], v[30:31], s[16:17]
	v_add_f64 v[8:9], v[16:17], v[8:9]
	v_mul_f64 v[16:17], v[28:29], s[22:23]
	v_fma_f64 v[124:125], v[32:33], s[30:31], v[4:5]
	v_fma_f64 v[4:5], v[32:33], s[30:31], -v[4:5]
	v_add_f64 v[68:69], v[110:111], v[68:69]
	v_add_f64 v[112:113], v[128:129], v[112:113]
	v_mul_f64 v[36:37], v[40:41], s[26:27]
	v_add_f64 v[106:107], v[118:119], v[106:107]
	v_mul_f64 v[118:119], v[40:41], s[22:23]
	;; [unrolled: 2-line block ×3, first 2 shown]
	v_mul_f64 v[28:29], v[28:29], s[28:29]
	v_add_f64 v[104:105], v[104:105], v[114:115]
	v_fma_f64 v[114:115], v[38:39], s[18:19], -v[122:123]
	v_fma_f64 v[110:111], v[44:45], s[18:19], v[116:117]
	v_add_f64 v[10:11], v[120:121], v[10:11]
	v_fma_f64 v[122:123], v[38:39], s[18:19], v[122:123]
	v_fma_f64 v[120:121], v[38:39], s[24:25], -v[34:35]
	v_add_f64 v[2:3], v[24:25], v[2:3]
	v_fma_f64 v[34:35], v[38:39], s[24:25], v[34:35]
	v_fma_f64 v[24:25], v[44:45], s[24:25], v[18:19]
	;; [unrolled: 1-line block ×3, first 2 shown]
	v_fma_f64 v[30:31], v[44:45], s[4:5], -v[30:31]
	v_add_f64 v[0:1], v[26:27], v[0:1]
	v_fma_f64 v[26:27], v[44:45], s[18:19], -v[116:117]
	v_fma_f64 v[18:19], v[44:45], s[24:25], -v[18:19]
	v_fma_f64 v[44:45], v[42:43], s[24:25], v[16:17]
	v_add_f64 v[4:5], v[4:5], v[8:9]
	v_fma_f64 v[8:9], v[42:43], s[24:25], -v[16:17]
	v_add_f64 v[16:17], v[100:101], v[98:99]
	v_add_f64 v[112:113], v[124:125], v[112:113]
	v_mul_f64 v[124:125], v[40:41], s[12:13]
	v_fma_f64 v[100:101], v[42:43], s[2:3], -v[126:127]
	v_mul_f64 v[40:41], v[40:41], s[28:29]
	v_fma_f64 v[116:117], v[46:47], s[24:25], -v[118:119]
	v_add_f64 v[106:107], v[114:115], v[106:107]
	v_fma_f64 v[114:115], v[42:43], s[20:21], -v[28:29]
	v_fma_f64 v[98:99], v[46:47], s[24:25], v[118:119]
	v_add_f64 v[104:105], v[110:111], v[104:105]
	v_add_f64 v[108:109], v[120:121], v[108:109]
	v_fma_f64 v[32:33], v[42:43], s[4:5], v[12:13]
	v_fma_f64 v[12:13], v[42:43], s[4:5], -v[12:13]
	v_fma_f64 v[128:129], v[46:47], s[4:5], -v[36:37]
	v_add_f64 v[38:39], v[38:39], v[68:69]
	v_add_f64 v[68:69], v[30:31], v[94:95]
	v_fma_f64 v[94:95], v[42:43], s[2:3], v[126:127]
	v_add_f64 v[126:127], v[34:35], v[0:1]
	v_fma_f64 v[36:37], v[46:47], s[4:5], v[36:37]
	v_add_f64 v[34:35], v[44:45], v[102:103]
	buffer_load_dword v44, off, s[48:51], 0 offset:748 ; 4-byte Folded Reload
	v_add_f64 v[110:111], v[122:123], v[10:11]
	v_fma_f64 v[42:43], v[42:43], s[20:21], v[28:29]
	v_add_f64 v[112:113], v[24:25], v[112:113]
	v_fma_f64 v[118:119], v[46:47], s[2:3], v[124:125]
	v_fma_f64 v[122:123], v[46:47], s[2:3], -v[124:125]
	v_fma_f64 v[120:121], v[46:47], s[20:21], v[40:41]
	v_add_f64 v[124:125], v[26:27], v[2:3]
	v_fma_f64 v[40:41], v[46:47], s[20:21], -v[40:41]
	v_add_f64 v[46:47], v[18:19], v[4:5]
	v_add_f64 v[26:27], v[80:81], v[134:135]
	v_add_f64 v[24:25], v[84:85], v[132:133]
	v_add_f64 v[0:1], v[20:21], v[82:83]
	v_add_f64 v[4:5], v[22:23], v[92:93]
	v_add_f64 v[22:23], v[114:115], v[108:109]
	v_add_f64 v[2:3], v[6:7], v[96:97]
	v_add_f64 v[6:7], v[14:15], v[86:87]
	v_add_f64 v[14:15], v[8:9], v[16:17]
	v_add_f64 v[18:19], v[100:101], v[106:107]
	v_add_f64 v[10:11], v[12:13], v[88:89]
	v_add_f64 v[12:13], v[98:99], v[38:39]
	v_add_f64 v[8:9], v[36:37], v[70:71]
	v_add_f64 v[30:31], v[32:33], v[53:54]
	v_add_f64 v[28:29], v[128:129], v[90:91]
	v_add_f64 v[32:33], v[116:117], v[68:69]
	v_add_f64 v[38:39], v[94:95], v[110:111]
	v_add_f64 v[16:17], v[118:119], v[104:105]
	v_add_f64 v[42:43], v[42:43], v[126:127]
	v_add_f64 v[20:21], v[120:121], v[112:113]
	v_add_f64 v[36:37], v[122:123], v[124:125]
	v_add_f64 v[40:41], v[40:41], v[46:47]
	s_waitcnt vmcnt(0)
	v_lshl_add_u32 v44, v44, 4, v191
	ds_write_b128 v44, v[24:27]
	ds_write_b128 v44, v[20:23] offset:16
	ds_write_b128 v44, v[16:19] offset:32
	;; [unrolled: 1-line block ×12, first 2 shown]
.LBB0_13:
	s_or_b32 exec_lo, exec_lo, s33
	s_waitcnt lgkmcnt(0)
	s_barrier
	buffer_gl0_inv
	ds_read_b128 v[0:3], v164 offset:1040
	ds_read_b128 v[4:7], v164 offset:832
	s_mov_b32 s4, 0x134454ff
	s_mov_b32 s5, 0xbfee6f0e
	;; [unrolled: 1-line block ×10, first 2 shown]
	s_waitcnt lgkmcnt(1)
	v_mul_f64 v[8:9], v[78:79], v[2:3]
	v_fma_f64 v[53:54], v[76:77], v[0:1], v[8:9]
	v_mul_f64 v[0:1], v[78:79], v[0:1]
	v_fma_f64 v[60:61], v[76:77], v[2:3], -v[0:1]
	ds_read_b128 v[0:3], v164 offset:1248
	ds_read_b128 v[8:11], v164 offset:1456
	s_waitcnt lgkmcnt(1)
	v_mul_f64 v[12:13], v[78:79], v[2:3]
	v_fma_f64 v[69:70], v[76:77], v[0:1], v[12:13]
	v_mul_f64 v[0:1], v[78:79], v[0:1]
	v_fma_f64 v[76:77], v[76:77], v[2:3], -v[0:1]
	ds_read_b128 v[0:3], v164 offset:2080
	ds_read_b128 v[12:15], v164 offset:2288
	s_waitcnt lgkmcnt(1)
	v_mul_f64 v[16:17], v[74:75], v[2:3]
	v_fma_f64 v[62:63], v[72:73], v[0:1], v[16:17]
	v_mul_f64 v[0:1], v[74:75], v[0:1]
	v_fma_f64 v[78:79], v[72:73], v[2:3], -v[0:1]
	s_waitcnt lgkmcnt(0)
	v_mul_f64 v[0:1], v[74:75], v[14:15]
	v_fma_f64 v[80:81], v[72:73], v[12:13], v[0:1]
	v_mul_f64 v[0:1], v[74:75], v[12:13]
	v_fma_f64 v[71:72], v[72:73], v[14:15], -v[0:1]
	ds_read_b128 v[0:3], v164 offset:3120
	ds_read_b128 v[14:17], v164 offset:2912
	s_waitcnt lgkmcnt(1)
	v_mul_f64 v[12:13], v[66:67], v[2:3]
	v_fma_f64 v[73:74], v[64:65], v[0:1], v[12:13]
	v_mul_f64 v[0:1], v[66:67], v[0:1]
	v_add_f64 v[98:99], v[62:63], -v[73:74]
	v_fma_f64 v[82:83], v[64:65], v[2:3], -v[0:1]
	ds_read_b128 v[0:3], v164 offset:3328
	ds_read_b128 v[18:21], v164 offset:3536
	s_waitcnt lgkmcnt(1)
	v_mul_f64 v[12:13], v[66:67], v[2:3]
	v_add_f64 v[94:95], v[78:79], -v[82:83]
	v_fma_f64 v[84:85], v[64:65], v[0:1], v[12:13]
	v_mul_f64 v[0:1], v[66:67], v[0:1]
	v_fma_f64 v[86:87], v[64:65], v[2:3], -v[0:1]
	ds_read_b128 v[0:3], v164 offset:4160
	ds_read_b128 v[22:25], v164 offset:4368
	s_waitcnt lgkmcnt(1)
	v_mul_f64 v[12:13], v[58:59], v[2:3]
	v_fma_f64 v[64:65], v[56:57], v[0:1], v[12:13]
	v_mul_f64 v[0:1], v[58:59], v[0:1]
	v_add_f64 v[96:97], v[53:54], -v[64:65]
	v_fma_f64 v[66:67], v[56:57], v[2:3], -v[0:1]
	s_waitcnt lgkmcnt(0)
	v_mul_f64 v[0:1], v[58:59], v[24:25]
	v_add_f64 v[92:93], v[60:61], -v[66:67]
	v_fma_f64 v[88:89], v[56:57], v[22:23], v[0:1]
	v_mul_f64 v[0:1], v[58:59], v[22:23]
	v_fma_f64 v[90:91], v[56:57], v[24:25], -v[0:1]
	s_clause 0x3
	buffer_load_dword v22, off, s[48:51], 0 offset:272
	buffer_load_dword v23, off, s[48:51], 0 offset:276
	;; [unrolled: 1-line block ×4, first 2 shown]
	s_waitcnt vmcnt(0)
	v_mul_f64 v[0:1], v[24:25], v[10:11]
	v_fma_f64 v[100:101], v[22:23], v[8:9], v[0:1]
	v_mul_f64 v[0:1], v[24:25], v[8:9]
	v_fma_f64 v[102:103], v[22:23], v[10:11], -v[0:1]
	ds_read_b128 v[0:3], v164 offset:2496
	ds_read_b128 v[8:11], v164 offset:2704
	s_clause 0x3
	buffer_load_dword v22, off, s[48:51], 0 offset:256
	buffer_load_dword v23, off, s[48:51], 0 offset:260
	;; [unrolled: 1-line block ×4, first 2 shown]
	s_waitcnt vmcnt(0) lgkmcnt(1)
	v_mul_f64 v[12:13], v[24:25], v[2:3]
	v_fma_f64 v[104:105], v[22:23], v[0:1], v[12:13]
	v_mul_f64 v[0:1], v[24:25], v[0:1]
	v_fma_f64 v[106:107], v[22:23], v[2:3], -v[0:1]
	s_clause 0x3
	buffer_load_dword v22, off, s[48:51], 0 offset:304
	buffer_load_dword v23, off, s[48:51], 0 offset:308
	;; [unrolled: 1-line block ×4, first 2 shown]
	s_waitcnt vmcnt(0)
	v_mul_f64 v[0:1], v[24:25], v[20:21]
	v_fma_f64 v[108:109], v[22:23], v[18:19], v[0:1]
	v_mul_f64 v[0:1], v[24:25], v[18:19]
	v_add_f64 v[120:121], v[104:105], -v[108:109]
	v_fma_f64 v[110:111], v[22:23], v[20:21], -v[0:1]
	ds_read_b128 v[0:3], v164 offset:4576
	ds_read_b128 v[36:39], v164 offset:4784
	s_clause 0x3
	buffer_load_dword v18, off, s[48:51], 0 offset:288
	buffer_load_dword v19, off, s[48:51], 0 offset:292
	;; [unrolled: 1-line block ×4, first 2 shown]
	v_add_f64 v[116:117], v[106:107], -v[110:111]
	s_waitcnt vmcnt(0) lgkmcnt(1)
	v_mul_f64 v[12:13], v[20:21], v[2:3]
	v_fma_f64 v[112:113], v[18:19], v[0:1], v[12:13]
	v_mul_f64 v[0:1], v[20:21], v[0:1]
	v_add_f64 v[122:123], v[100:101], -v[112:113]
	v_fma_f64 v[114:115], v[18:19], v[2:3], -v[0:1]
	ds_read_b128 v[0:3], v164 offset:1664
	ds_read_b128 v[40:43], v164 offset:1872
	s_clause 0x7
	buffer_load_dword v18, off, s[48:51], 0 offset:320
	buffer_load_dword v19, off, s[48:51], 0 offset:324
	buffer_load_dword v20, off, s[48:51], 0 offset:328
	buffer_load_dword v21, off, s[48:51], 0 offset:332
	buffer_load_dword v28, off, s[48:51], 0 offset:336
	buffer_load_dword v29, off, s[48:51], 0 offset:340
	buffer_load_dword v30, off, s[48:51], 0 offset:344
	buffer_load_dword v31, off, s[48:51], 0 offset:348
	v_add_f64 v[118:119], v[102:103], -v[114:115]
	s_waitcnt vmcnt(4) lgkmcnt(1)
	v_mul_f64 v[12:13], v[20:21], v[2:3]
	v_fma_f64 v[24:25], v[18:19], v[0:1], v[12:13]
	v_mul_f64 v[0:1], v[20:21], v[0:1]
	v_fma_f64 v[20:21], v[18:19], v[2:3], -v[0:1]
	s_waitcnt vmcnt(0)
	v_mul_f64 v[0:1], v[30:31], v[10:11]
	v_fma_f64 v[26:27], v[28:29], v[8:9], v[0:1]
	v_mul_f64 v[0:1], v[30:31], v[8:9]
	v_fma_f64 v[22:23], v[28:29], v[10:11], -v[0:1]
	ds_read_b128 v[0:3], v164 offset:3744
	ds_read_b128 v[44:47], v164 offset:3952
	s_clause 0x3
	buffer_load_dword v10, off, s[48:51], 0 offset:352
	buffer_load_dword v11, off, s[48:51], 0 offset:356
	;; [unrolled: 1-line block ×4, first 2 shown]
	s_waitcnt vmcnt(0) lgkmcnt(1)
	v_mul_f64 v[8:9], v[12:13], v[2:3]
	v_fma_f64 v[30:31], v[10:11], v[0:1], v[8:9]
	v_mul_f64 v[0:1], v[12:13], v[0:1]
	v_fma_f64 v[28:29], v[10:11], v[2:3], -v[0:1]
	s_clause 0x3
	buffer_load_dword v8, off, s[48:51], 0 offset:368
	buffer_load_dword v9, off, s[48:51], 0 offset:372
	;; [unrolled: 1-line block ×4, first 2 shown]
	s_waitcnt vmcnt(0)
	v_mul_f64 v[0:1], v[10:11], v[38:39]
	v_fma_f64 v[34:35], v[8:9], v[36:37], v[0:1]
	v_mul_f64 v[0:1], v[10:11], v[36:37]
	s_clause 0x3
	buffer_load_dword v10, off, s[48:51], 0 offset:384
	buffer_load_dword v11, off, s[48:51], 0 offset:388
	;; [unrolled: 1-line block ×4, first 2 shown]
	v_fma_f64 v[32:33], v[8:9], v[38:39], -v[0:1]
	s_clause 0x3
	buffer_load_dword v36, off, s[48:51], 0 offset:400
	buffer_load_dword v37, off, s[48:51], 0 offset:404
	;; [unrolled: 1-line block ×4, first 2 shown]
	s_waitcnt vmcnt(4)
	v_mul_f64 v[0:1], v[12:13], v[42:43]
	s_waitcnt vmcnt(0)
	v_mul_f64 v[2:3], v[38:39], v[16:17]
	v_fma_f64 v[8:9], v[10:11], v[40:41], v[0:1]
	v_mul_f64 v[0:1], v[12:13], v[40:41]
	v_fma_f64 v[12:13], v[36:37], v[14:15], v[2:3]
	v_mul_f64 v[2:3], v[38:39], v[14:15]
	v_fma_f64 v[0:1], v[10:11], v[42:43], -v[0:1]
	v_fma_f64 v[2:3], v[36:37], v[16:17], -v[2:3]
	s_clause 0x3
	buffer_load_dword v16, off, s[48:51], 0 offset:416
	buffer_load_dword v17, off, s[48:51], 0 offset:420
	;; [unrolled: 1-line block ×4, first 2 shown]
	ds_read_b128 v[36:39], v164 offset:4992
	s_clause 0x3
	buffer_load_dword v40, off, s[48:51], 0 offset:688
	buffer_load_dword v41, off, s[48:51], 0 offset:692
	buffer_load_dword v42, off, s[48:51], 0 offset:696
	buffer_load_dword v43, off, s[48:51], 0 offset:700
	s_waitcnt vmcnt(4) lgkmcnt(1)
	v_mul_f64 v[10:11], v[18:19], v[46:47]
	v_fma_f64 v[14:15], v[16:17], v[44:45], v[10:11]
	v_mul_f64 v[10:11], v[18:19], v[44:45]
	v_add_f64 v[44:45], v[62:63], v[73:74]
	v_fma_f64 v[10:11], v[16:17], v[46:47], -v[10:11]
	s_waitcnt vmcnt(0) lgkmcnt(0)
	v_mul_f64 v[16:17], v[42:43], v[38:39]
	v_fma_f64 v[18:19], v[40:41], v[36:37], v[16:17]
	v_mul_f64 v[16:17], v[42:43], v[36:37]
	v_add_f64 v[36:37], v[53:54], -v[62:63]
	v_fma_f64 v[16:17], v[40:41], v[38:39], -v[16:17]
	v_add_f64 v[38:39], v[64:65], -v[73:74]
	v_add_f64 v[49:50], v[36:37], v[38:39]
	v_add_f64 v[36:37], v[60:61], -v[78:79]
	v_add_f64 v[38:39], v[66:67], -v[82:83]
	v_add_f64 v[51:52], v[36:37], v[38:39]
	ds_read_b128 v[36:39], v164
	ds_read_b128 v[40:43], v164 offset:208
	s_waitcnt lgkmcnt(1)
	v_fma_f64 v[55:56], v[44:45], -0.5, v[36:37]
	v_add_f64 v[44:45], v[78:79], v[82:83]
	v_fma_f64 v[57:58], v[44:45], -0.5, v[38:39]
	v_fma_f64 v[44:45], v[92:93], s[4:5], v[55:56]
	v_fma_f64 v[55:56], v[92:93], s[12:13], v[55:56]
	;; [unrolled: 1-line block ×10, first 2 shown]
	v_add_f64 v[55:56], v[53:54], v[64:65]
	v_fma_f64 v[46:47], v[51:52], s[16:17], v[46:47]
	v_fma_f64 v[51:52], v[51:52], s[16:17], v[57:58]
	v_add_f64 v[57:58], v[60:61], v[66:67]
	v_fma_f64 v[55:56], v[55:56], -0.5, v[36:37]
	v_add_f64 v[36:37], v[36:37], v[53:54]
	v_add_f64 v[53:54], v[62:63], -v[53:54]
	v_fma_f64 v[57:58], v[57:58], -0.5, v[38:39]
	v_add_f64 v[38:39], v[38:39], v[60:61]
	v_add_f64 v[59:60], v[78:79], -v[60:61]
	v_add_f64 v[36:37], v[36:37], v[62:63]
	v_add_f64 v[62:63], v[73:74], -v[64:65]
	;; [unrolled: 2-line block ×3, first 2 shown]
	v_add_f64 v[36:37], v[36:37], v[73:74]
	v_fma_f64 v[73:74], v[98:99], s[4:5], v[57:58]
	v_fma_f64 v[57:58], v[98:99], s[12:13], v[57:58]
	v_add_f64 v[61:62], v[53:54], v[62:63]
	v_add_f64 v[38:39], v[38:39], v[82:83]
	;; [unrolled: 1-line block ×3, first 2 shown]
	v_add_f64 v[64:65], v[82:83], -v[66:67]
	v_add_f64 v[82:83], v[71:72], -v[86:87]
	v_add_f64 v[38:39], v[38:39], v[66:67]
	v_fma_f64 v[66:67], v[94:95], s[12:13], v[55:56]
	v_fma_f64 v[55:56], v[94:95], s[4:5], v[55:56]
	v_add_f64 v[59:60], v[59:60], v[64:65]
	v_add_f64 v[94:95], v[69:70], -v[88:89]
	v_fma_f64 v[53:54], v[92:93], s[0:1], v[66:67]
	v_fma_f64 v[63:64], v[92:93], s[2:3], v[55:56]
	;; [unrolled: 1-line block ×4, first 2 shown]
	v_add_f64 v[96:97], v[80:81], -v[84:85]
	v_fma_f64 v[53:54], v[61:62], s[16:17], v[53:54]
	v_fma_f64 v[57:58], v[61:62], s[16:17], v[63:64]
	v_add_f64 v[61:62], v[69:70], -v[80:81]
	v_add_f64 v[63:64], v[88:89], -v[84:85]
	v_fma_f64 v[55:56], v[59:60], s[16:17], v[55:56]
	v_fma_f64 v[59:60], v[59:60], s[16:17], v[65:66]
	v_add_f64 v[65:66], v[61:62], v[63:64]
	v_add_f64 v[61:62], v[76:77], -v[71:72]
	v_add_f64 v[63:64], v[90:91], -v[86:87]
	v_add_f64 v[67:68], v[61:62], v[63:64]
	v_add_f64 v[61:62], v[80:81], v[84:85]
	;; [unrolled: 1-line block ×3, first 2 shown]
	s_waitcnt lgkmcnt(0)
	v_fma_f64 v[73:74], v[61:62], -0.5, v[40:41]
	v_fma_f64 v[92:93], v[63:64], -0.5, v[42:43]
	v_fma_f64 v[61:62], v[78:79], s[4:5], v[73:74]
	v_fma_f64 v[73:74], v[78:79], s[12:13], v[73:74]
	;; [unrolled: 1-line block ×10, first 2 shown]
	v_add_f64 v[73:74], v[69:70], v[88:89]
	v_fma_f64 v[63:64], v[67:68], s[16:17], v[63:64]
	v_fma_f64 v[67:68], v[67:68], s[16:17], v[92:93]
	v_add_f64 v[92:93], v[76:77], v[90:91]
	v_fma_f64 v[73:74], v[73:74], -0.5, v[40:41]
	v_add_f64 v[40:41], v[40:41], v[69:70]
	v_add_f64 v[69:70], v[80:81], -v[69:70]
	v_fma_f64 v[92:93], v[92:93], -0.5, v[42:43]
	v_add_f64 v[42:43], v[42:43], v[76:77]
	v_fma_f64 v[98:99], v[82:83], s[12:13], v[73:74]
	v_add_f64 v[40:41], v[40:41], v[80:81]
	v_fma_f64 v[73:74], v[82:83], s[4:5], v[73:74]
	v_add_f64 v[80:81], v[86:87], -v[90:91]
	v_add_f64 v[42:43], v[42:43], v[71:72]
	v_add_f64 v[71:72], v[71:72], -v[76:77]
	v_add_f64 v[75:76], v[84:85], -v[88:89]
	v_fma_f64 v[82:83], v[96:97], s[4:5], v[92:93]
	v_add_f64 v[40:41], v[40:41], v[84:85]
	v_fma_f64 v[84:85], v[96:97], s[12:13], v[92:93]
	v_fma_f64 v[73:74], v[78:79], s[2:3], v[73:74]
	v_add_f64 v[42:43], v[42:43], v[86:87]
	v_add_f64 v[92:93], v[102:103], v[114:115]
	;; [unrolled: 1-line block ×3, first 2 shown]
	v_fma_f64 v[69:70], v[78:79], s[0:1], v[98:99]
	v_add_f64 v[77:78], v[71:72], v[80:81]
	v_fma_f64 v[71:72], v[94:95], s[2:3], v[82:83]
	v_add_f64 v[81:82], v[110:111], -v[114:115]
	v_add_f64 v[40:41], v[40:41], v[88:89]
	v_fma_f64 v[79:80], v[94:95], s[0:1], v[84:85]
	v_add_f64 v[42:43], v[42:43], v[90:91]
	ds_read_b128 v[84:87], v164 offset:416
	ds_read_b128 v[88:91], v164 offset:624
	v_fma_f64 v[73:74], v[75:76], s[16:17], v[73:74]
	v_fma_f64 v[69:70], v[75:76], s[16:17], v[69:70]
	s_waitcnt lgkmcnt(0)
	v_fma_f64 v[71:72], v[77:78], s[16:17], v[71:72]
	s_barrier
	buffer_gl0_inv
	v_fma_f64 v[75:76], v[77:78], s[16:17], v[79:80]
	v_add_f64 v[77:78], v[104:105], -v[100:101]
	v_add_f64 v[79:80], v[108:109], -v[112:113]
	v_fma_f64 v[96:97], v[92:93], -0.5, v[86:87]
	v_add_f64 v[77:78], v[77:78], v[79:80]
	v_add_f64 v[79:80], v[106:107], -v[102:103]
	v_fma_f64 v[94:95], v[120:121], s[4:5], v[96:97]
	v_fma_f64 v[96:97], v[120:121], s[12:13], v[96:97]
	v_add_f64 v[79:80], v[79:80], v[81:82]
	v_add_f64 v[81:82], v[100:101], v[112:113]
	v_fma_f64 v[94:95], v[122:123], s[2:3], v[94:95]
	v_fma_f64 v[98:99], v[122:123], s[0:1], v[96:97]
	v_fma_f64 v[81:82], v[81:82], -0.5, v[84:85]
	v_fma_f64 v[94:95], v[79:80], s[16:17], v[94:95]
	v_fma_f64 v[98:99], v[79:80], s[16:17], v[98:99]
	v_add_f64 v[79:80], v[106:107], v[110:111]
	v_fma_f64 v[92:93], v[116:117], s[12:13], v[81:82]
	v_fma_f64 v[81:82], v[116:117], s[4:5], v[81:82]
	v_fma_f64 v[79:80], v[79:80], -0.5, v[86:87]
	v_fma_f64 v[92:93], v[118:119], s[0:1], v[92:93]
	v_fma_f64 v[81:82], v[118:119], s[2:3], v[81:82]
	;; [unrolled: 1-line block ×4, first 2 shown]
	v_add_f64 v[77:78], v[104:105], v[108:109]
	v_add_f64 v[81:82], v[84:85], v[100:101]
	v_add_f64 v[100:101], v[100:101], -v[104:105]
	v_fma_f64 v[77:78], v[77:78], -0.5, v[84:85]
	v_add_f64 v[83:84], v[86:87], v[102:103]
	v_add_f64 v[81:82], v[81:82], v[104:105]
	v_add_f64 v[104:105], v[112:113], -v[108:109]
	v_fma_f64 v[124:125], v[118:119], s[4:5], v[77:78]
	v_add_f64 v[83:84], v[83:84], v[106:107]
	v_add_f64 v[81:82], v[81:82], v[108:109]
	v_fma_f64 v[77:78], v[118:119], s[12:13], v[77:78]
	v_add_f64 v[104:105], v[100:101], v[104:105]
	v_fma_f64 v[100:101], v[116:117], s[0:1], v[124:125]
	v_add_f64 v[86:87], v[83:84], v[110:111]
	v_add_f64 v[84:85], v[81:82], v[112:113]
	v_add_f64 v[81:82], v[102:103], -v[106:107]
	v_add_f64 v[102:103], v[114:115], -v[110:111]
	v_fma_f64 v[106:107], v[122:123], s[12:13], v[79:80]
	v_fma_f64 v[79:80], v[122:123], s[4:5], v[79:80]
	;; [unrolled: 1-line block ×4, first 2 shown]
	v_add_f64 v[86:87], v[86:87], v[114:115]
	v_add_f64 v[81:82], v[81:82], v[102:103]
	v_fma_f64 v[102:103], v[120:121], s[2:3], v[106:107]
	v_fma_f64 v[79:80], v[120:121], s[0:1], v[79:80]
	;; [unrolled: 1-line block ×5, first 2 shown]
	ds_write_b128 v164, v[36:39]
	ds_write_b128 v164, v[44:47] offset:208
	ds_write_b128 v164, v[53:56] offset:416
	;; [unrolled: 1-line block ×14, first 2 shown]
	v_add_f64 v[36:37], v[26:27], -v[24:25]
	v_add_f64 v[38:39], v[30:31], -v[34:35]
	;; [unrolled: 1-line block ×6, first 2 shown]
	v_add_f64 v[57:58], v[88:89], v[24:25]
	v_add_f64 v[59:60], v[90:91], v[20:21]
	;; [unrolled: 1-line block ×3, first 2 shown]
	v_add_f64 v[36:37], v[22:23], -v[20:21]
	v_add_f64 v[38:39], v[28:29], -v[32:33]
	v_add_f64 v[42:43], v[36:37], v[38:39]
	v_add_f64 v[36:37], v[24:25], v[34:35]
	v_fma_f64 v[44:45], v[36:37], -0.5, v[88:89]
	v_add_f64 v[36:37], v[20:21], v[32:33]
	v_add_f64 v[20:21], v[20:21], -v[22:23]
	v_fma_f64 v[46:47], v[36:37], -0.5, v[90:91]
	v_fma_f64 v[36:37], v[49:50], s[12:13], v[44:45]
	v_fma_f64 v[44:45], v[49:50], s[4:5], v[44:45]
	;; [unrolled: 1-line block ×9, first 2 shown]
	v_add_f64 v[44:45], v[26:27], v[30:31]
	v_fma_f64 v[46:47], v[55:56], s[0:1], v[46:47]
	v_fma_f64 v[38:39], v[42:43], s[16:17], v[38:39]
	v_fma_f64 v[44:45], v[44:45], -0.5, v[88:89]
	v_fma_f64 v[42:43], v[42:43], s[16:17], v[46:47]
	v_add_f64 v[46:47], v[22:23], v[28:29]
	v_fma_f64 v[61:62], v[51:52], s[4:5], v[44:45]
	v_fma_f64 v[44:45], v[51:52], s[12:13], v[44:45]
	v_add_f64 v[51:52], v[24:25], -v[26:27]
	v_add_f64 v[24:25], v[57:58], v[26:27]
	v_add_f64 v[26:27], v[59:60], v[22:23]
	v_fma_f64 v[46:47], v[46:47], -0.5, v[90:91]
	v_add_f64 v[22:23], v[32:33], -v[28:29]
	v_fma_f64 v[44:45], v[49:50], s[2:3], v[44:45]
	v_add_f64 v[24:25], v[24:25], v[30:31]
	v_add_f64 v[26:27], v[26:27], v[28:29]
	v_add_f64 v[30:31], v[34:35], -v[30:31]
	v_fma_f64 v[28:29], v[55:56], s[12:13], v[46:47]
	v_add_f64 v[24:25], v[24:25], v[34:35]
	v_add_f64 v[26:27], v[26:27], v[32:33]
	v_fma_f64 v[32:33], v[55:56], s[4:5], v[46:47]
	v_add_f64 v[30:31], v[51:52], v[30:31]
	v_fma_f64 v[34:35], v[49:50], s[0:1], v[61:62]
	;; [unrolled: 2-line block ×3, first 2 shown]
	v_fma_f64 v[32:33], v[53:54], s[0:1], v[32:33]
	v_fma_f64 v[28:29], v[30:31], s[16:17], v[44:45]
	;; [unrolled: 1-line block ×3, first 2 shown]
	v_add_f64 v[34:35], v[0:1], -v[16:17]
	v_fma_f64 v[22:23], v[46:47], s[16:17], v[22:23]
	v_fma_f64 v[30:31], v[46:47], s[16:17], v[32:33]
	buffer_load_dword v32, off, s[48:51], 0 offset:740 ; 4-byte Folded Reload
	s_waitcnt vmcnt(0)
	ds_write_b128 v32, v[24:27] offset:3120
	ds_write_b128 v32, v[20:23] offset:3328
	;; [unrolled: 1-line block ×5, first 2 shown]
	v_add_f64 v[20:21], v[12:13], -v[8:9]
	v_add_f64 v[22:23], v[14:15], -v[18:19]
	;; [unrolled: 1-line block ×5, first 2 shown]
	v_add_f64 v[24:25], v[20:21], v[22:23]
	v_add_f64 v[20:21], v[2:3], -v[0:1]
	v_add_f64 v[22:23], v[10:11], -v[16:17]
	v_add_f64 v[26:27], v[20:21], v[22:23]
	v_add_f64 v[20:21], v[8:9], v[18:19]
	v_fma_f64 v[28:29], v[20:21], -0.5, v[4:5]
	v_add_f64 v[20:21], v[0:1], v[16:17]
	v_fma_f64 v[30:31], v[20:21], -0.5, v[6:7]
	v_fma_f64 v[20:21], v[32:33], s[12:13], v[28:29]
	v_fma_f64 v[28:29], v[32:33], s[4:5], v[28:29]
	;; [unrolled: 1-line block ×10, first 2 shown]
	v_add_f64 v[28:29], v[12:13], v[14:15]
	v_fma_f64 v[22:23], v[26:27], s[16:17], v[22:23]
	v_fma_f64 v[26:27], v[26:27], s[16:17], v[30:31]
	v_add_f64 v[30:31], v[2:3], v[10:11]
	v_fma_f64 v[28:29], v[28:29], -0.5, v[4:5]
	v_add_f64 v[4:5], v[4:5], v[8:9]
	v_add_f64 v[8:9], v[8:9], -v[12:13]
	v_fma_f64 v[30:31], v[30:31], -0.5, v[6:7]
	v_add_f64 v[6:7], v[6:7], v[0:1]
	v_fma_f64 v[40:41], v[34:35], s[4:5], v[28:29]
	v_add_f64 v[4:5], v[4:5], v[12:13]
	v_add_f64 v[12:13], v[18:19], -v[14:15]
	v_add_f64 v[0:1], v[0:1], -v[2:3]
	v_fma_f64 v[28:29], v[34:35], s[12:13], v[28:29]
	v_add_f64 v[6:7], v[6:7], v[2:3]
	v_add_f64 v[2:3], v[16:17], -v[10:11]
	v_add_f64 v[4:5], v[4:5], v[14:15]
	v_add_f64 v[8:9], v[8:9], v[12:13]
	v_fma_f64 v[12:13], v[32:33], s[0:1], v[40:41]
	v_fma_f64 v[14:15], v[38:39], s[4:5], v[30:31]
	v_add_f64 v[6:7], v[6:7], v[10:11]
	v_fma_f64 v[10:11], v[38:39], s[12:13], v[30:31]
	v_add_f64 v[4:5], v[4:5], v[18:19]
	v_add_f64 v[18:19], v[0:1], v[2:3]
	v_fma_f64 v[0:1], v[8:9], s[16:17], v[12:13]
	buffer_load_dword v12, off, s[48:51], 0 offset:736 ; 4-byte Folded Reload
	v_add_f64 v[6:7], v[6:7], v[16:17]
	v_fma_f64 v[2:3], v[36:37], s[2:3], v[10:11]
	v_fma_f64 v[16:17], v[32:33], s[2:3], v[28:29]
	;; [unrolled: 1-line block ×6, first 2 shown]
	s_waitcnt vmcnt(0)
	ds_write_b128 v12, v[4:7] offset:4160
	ds_write_b128 v12, v[0:3] offset:4368
	;; [unrolled: 1-line block ×5, first 2 shown]
	s_waitcnt lgkmcnt(0)
	s_barrier
	buffer_gl0_inv
	ds_read_b128 v[0:3], v164 offset:1040
	ds_read_b128 v[4:7], v164 offset:832
	s_clause 0x3
	buffer_load_dword v10, off, s[48:51], 0 offset:480
	buffer_load_dword v11, off, s[48:51], 0 offset:484
	;; [unrolled: 1-line block ×4, first 2 shown]
	s_waitcnt vmcnt(0) lgkmcnt(1)
	v_mul_f64 v[8:9], v[12:13], v[2:3]
	v_fma_f64 v[24:25], v[10:11], v[0:1], v[8:9]
	v_mul_f64 v[0:1], v[12:13], v[0:1]
	v_fma_f64 v[26:27], v[10:11], v[2:3], -v[0:1]
	ds_read_b128 v[0:3], v164 offset:2080
	ds_read_b128 v[8:11], v164 offset:2288
	s_clause 0x3
	buffer_load_dword v14, off, s[48:51], 0 offset:464
	buffer_load_dword v15, off, s[48:51], 0 offset:468
	;; [unrolled: 1-line block ×4, first 2 shown]
	s_waitcnt vmcnt(0) lgkmcnt(1)
	v_mul_f64 v[12:13], v[16:17], v[2:3]
	v_fma_f64 v[28:29], v[14:15], v[0:1], v[12:13]
	v_mul_f64 v[0:1], v[16:17], v[0:1]
	v_fma_f64 v[30:31], v[14:15], v[2:3], -v[0:1]
	ds_read_b128 v[0:3], v164 offset:3120
	ds_read_b128 v[12:15], v164 offset:2912
	s_clause 0x3
	buffer_load_dword v18, off, s[48:51], 0 offset:448
	buffer_load_dword v19, off, s[48:51], 0 offset:452
	;; [unrolled: 1-line block ×4, first 2 shown]
	s_waitcnt vmcnt(0) lgkmcnt(1)
	v_mul_f64 v[16:17], v[20:21], v[2:3]
	v_fma_f64 v[32:33], v[18:19], v[0:1], v[16:17]
	v_mul_f64 v[0:1], v[20:21], v[0:1]
	v_add_f64 v[111:112], v[28:29], -v[32:33]
	v_fma_f64 v[34:35], v[18:19], v[2:3], -v[0:1]
	ds_read_b128 v[0:3], v164 offset:4160
	ds_read_b128 v[16:19], v164 offset:4368
	s_clause 0x3
	buffer_load_dword v38, off, s[48:51], 0 offset:432
	buffer_load_dword v39, off, s[48:51], 0 offset:436
	;; [unrolled: 1-line block ×4, first 2 shown]
	s_waitcnt vmcnt(0) lgkmcnt(1)
	v_mul_f64 v[20:21], v[40:41], v[2:3]
	v_fma_f64 v[36:37], v[38:39], v[0:1], v[20:21]
	v_mul_f64 v[0:1], v[40:41], v[0:1]
	v_add_f64 v[109:110], v[24:25], -v[36:37]
	v_fma_f64 v[38:39], v[38:39], v[2:3], -v[0:1]
	ds_read_b128 v[0:3], v164 offset:1248
	ds_read_b128 v[20:23], v164 offset:1456
	s_clause 0x7
	buffer_load_dword v42, off, s[48:51], 0 offset:496
	buffer_load_dword v43, off, s[48:51], 0 offset:500
	;; [unrolled: 1-line block ×8, first 2 shown]
	s_waitcnt vmcnt(4) lgkmcnt(1)
	v_mul_f64 v[40:41], v[44:45], v[2:3]
	v_fma_f64 v[40:41], v[42:43], v[0:1], v[40:41]
	v_mul_f64 v[0:1], v[44:45], v[0:1]
	v_fma_f64 v[42:43], v[42:43], v[2:3], -v[0:1]
	s_waitcnt vmcnt(0)
	v_mul_f64 v[0:1], v[51:52], v[10:11]
	v_fma_f64 v[44:45], v[49:50], v[8:9], v[0:1]
	v_mul_f64 v[0:1], v[51:52], v[8:9]
	v_fma_f64 v[46:47], v[49:50], v[10:11], -v[0:1]
	ds_read_b128 v[0:3], v164 offset:3328
	ds_read_b128 v[8:11], v164 offset:3536
	s_clause 0x7
	buffer_load_dword v51, off, s[48:51], 0 offset:528
	buffer_load_dword v52, off, s[48:51], 0 offset:532
	;; [unrolled: 1-line block ×8, first 2 shown]
	s_waitcnt vmcnt(4) lgkmcnt(1)
	v_mul_f64 v[49:50], v[53:54], v[2:3]
	v_fma_f64 v[49:50], v[51:52], v[0:1], v[49:50]
	v_mul_f64 v[0:1], v[53:54], v[0:1]
	v_fma_f64 v[51:52], v[51:52], v[2:3], -v[0:1]
	s_waitcnt vmcnt(0)
	v_mul_f64 v[0:1], v[57:58], v[18:19]
	v_fma_f64 v[53:54], v[55:56], v[16:17], v[0:1]
	v_mul_f64 v[0:1], v[57:58], v[16:17]
	v_fma_f64 v[55:56], v[55:56], v[18:19], -v[0:1]
	s_clause 0x3
	buffer_load_dword v16, off, s[48:51], 0 offset:576
	buffer_load_dword v17, off, s[48:51], 0 offset:580
	buffer_load_dword v18, off, s[48:51], 0 offset:584
	buffer_load_dword v19, off, s[48:51], 0 offset:588
	s_waitcnt vmcnt(0)
	v_mul_f64 v[0:1], v[18:19], v[22:23]
	v_fma_f64 v[61:62], v[16:17], v[20:21], v[0:1]
	v_mul_f64 v[0:1], v[18:19], v[20:21]
	v_fma_f64 v[63:64], v[16:17], v[22:23], -v[0:1]
	ds_read_b128 v[0:3], v164 offset:2496
	ds_read_b128 v[16:19], v164 offset:2704
	s_clause 0x3
	buffer_load_dword v57, off, s[48:51], 0 offset:560
	buffer_load_dword v58, off, s[48:51], 0 offset:564
	buffer_load_dword v59, off, s[48:51], 0 offset:568
	buffer_load_dword v60, off, s[48:51], 0 offset:572
	s_waitcnt vmcnt(0) lgkmcnt(1)
	v_mul_f64 v[20:21], v[59:60], v[2:3]
	v_fma_f64 v[65:66], v[57:58], v[0:1], v[20:21]
	s_clause 0x3
	buffer_load_dword v20, off, s[48:51], 0 offset:592
	buffer_load_dword v21, off, s[48:51], 0 offset:596
	;; [unrolled: 1-line block ×4, first 2 shown]
	v_mul_f64 v[0:1], v[59:60], v[0:1]
	v_fma_f64 v[67:68], v[57:58], v[2:3], -v[0:1]
	s_waitcnt vmcnt(0)
	v_mul_f64 v[0:1], v[22:23], v[10:11]
	v_fma_f64 v[69:70], v[20:21], v[8:9], v[0:1]
	v_mul_f64 v[0:1], v[22:23], v[8:9]
	v_add_f64 v[119:120], v[65:66], -v[69:70]
	v_fma_f64 v[71:72], v[20:21], v[10:11], -v[0:1]
	ds_read_b128 v[0:3], v164 offset:4576
	ds_read_b128 v[8:11], v164 offset:4784
	s_clause 0x3
	buffer_load_dword v57, off, s[48:51], 0 offset:608
	buffer_load_dword v58, off, s[48:51], 0 offset:612
	;; [unrolled: 1-line block ×4, first 2 shown]
	v_add_f64 v[115:116], v[67:68], -v[71:72]
	s_waitcnt vmcnt(0) lgkmcnt(1)
	v_mul_f64 v[20:21], v[59:60], v[2:3]
	v_fma_f64 v[73:74], v[57:58], v[0:1], v[20:21]
	v_mul_f64 v[0:1], v[59:60], v[0:1]
	v_add_f64 v[117:118], v[61:62], -v[73:74]
	v_fma_f64 v[75:76], v[57:58], v[2:3], -v[0:1]
	ds_read_b128 v[0:3], v164 offset:1664
	ds_read_b128 v[20:23], v164 offset:1872
	s_clause 0x3
	buffer_load_dword v79, off, s[48:51], 0 offset:624
	buffer_load_dword v80, off, s[48:51], 0 offset:628
	;; [unrolled: 1-line block ×4, first 2 shown]
	v_add_f64 v[113:114], v[63:64], -v[75:76]
	s_waitcnt vmcnt(0) lgkmcnt(1)
	v_mul_f64 v[57:58], v[81:82], v[2:3]
	v_fma_f64 v[77:78], v[79:80], v[0:1], v[57:58]
	s_clause 0x3
	buffer_load_dword v57, off, s[48:51], 0 offset:640
	buffer_load_dword v58, off, s[48:51], 0 offset:644
	buffer_load_dword v59, off, s[48:51], 0 offset:648
	buffer_load_dword v60, off, s[48:51], 0 offset:652
	v_mul_f64 v[0:1], v[81:82], v[0:1]
	v_fma_f64 v[79:80], v[79:80], v[2:3], -v[0:1]
	s_waitcnt vmcnt(0)
	v_mul_f64 v[0:1], v[59:60], v[18:19]
	v_fma_f64 v[81:82], v[57:58], v[16:17], v[0:1]
	v_mul_f64 v[0:1], v[59:60], v[16:17]
	v_fma_f64 v[83:84], v[57:58], v[18:19], -v[0:1]
	ds_read_b128 v[0:3], v164 offset:3744
	ds_read_b128 v[16:19], v164 offset:3952
	s_clause 0x3
	buffer_load_dword v87, off, s[48:51], 0 offset:656
	buffer_load_dword v88, off, s[48:51], 0 offset:660
	;; [unrolled: 1-line block ×4, first 2 shown]
	s_waitcnt vmcnt(0) lgkmcnt(1)
	v_mul_f64 v[57:58], v[89:90], v[2:3]
	v_fma_f64 v[85:86], v[87:88], v[0:1], v[57:58]
	s_clause 0x3
	buffer_load_dword v57, off, s[48:51], 0 offset:672
	buffer_load_dword v58, off, s[48:51], 0 offset:676
	;; [unrolled: 1-line block ×4, first 2 shown]
	v_mul_f64 v[0:1], v[89:90], v[0:1]
	v_fma_f64 v[87:88], v[87:88], v[2:3], -v[0:1]
	s_waitcnt vmcnt(0)
	v_mul_f64 v[0:1], v[59:60], v[10:11]
	v_fma_f64 v[89:90], v[57:58], v[8:9], v[0:1]
	v_mul_f64 v[0:1], v[59:60], v[8:9]
	v_add_f64 v[59:60], v[30:31], -v[34:35]
	v_fma_f64 v[91:92], v[57:58], v[10:11], -v[0:1]
	s_clause 0x3
	buffer_load_dword v8, off, s[48:51], 0 offset:704
	buffer_load_dword v9, off, s[48:51], 0 offset:708
	;; [unrolled: 1-line block ×4, first 2 shown]
	v_add_f64 v[57:58], v[26:27], -v[38:39]
	s_waitcnt vmcnt(0)
	v_mul_f64 v[0:1], v[10:11], v[22:23]
	v_fma_f64 v[93:94], v[8:9], v[20:21], v[0:1]
	v_mul_f64 v[0:1], v[10:11], v[20:21]
	v_fma_f64 v[95:96], v[8:9], v[22:23], -v[0:1]
	s_clause 0x3
	buffer_load_dword v8, off, s[48:51], 0 offset:720
	buffer_load_dword v9, off, s[48:51], 0 offset:724
	;; [unrolled: 1-line block ×4, first 2 shown]
	s_waitcnt vmcnt(0)
	v_mul_f64 v[0:1], v[10:11], v[14:15]
	v_fma_f64 v[97:98], v[8:9], v[12:13], v[0:1]
	v_mul_f64 v[0:1], v[10:11], v[12:13]
	v_add_f64 v[12:13], v[28:29], v[32:33]
	v_fma_f64 v[99:100], v[8:9], v[14:15], -v[0:1]
	s_waitcnt lgkmcnt(0)
	v_mul_f64 v[0:1], v[194:195], v[18:19]
	v_fma_f64 v[101:102], v[192:193], v[16:17], v[0:1]
	v_mul_f64 v[0:1], v[194:195], v[16:17]
	v_fma_f64 v[103:104], v[192:193], v[18:19], -v[0:1]
	ds_read_b128 v[0:3], v164 offset:4992
	s_waitcnt lgkmcnt(0)
	v_mul_f64 v[8:9], v[198:199], v[2:3]
	v_fma_f64 v[105:106], v[196:197], v[0:1], v[8:9]
	v_mul_f64 v[0:1], v[198:199], v[0:1]
	v_fma_f64 v[107:108], v[196:197], v[2:3], -v[0:1]
	v_add_f64 v[0:1], v[24:25], -v[28:29]
	v_add_f64 v[2:3], v[36:37], -v[32:33]
	v_add_f64 v[16:17], v[0:1], v[2:3]
	v_add_f64 v[0:1], v[26:27], -v[30:31]
	v_add_f64 v[2:3], v[38:39], -v[34:35]
	v_add_f64 v[18:19], v[0:1], v[2:3]
	ds_read_b128 v[0:3], v164
	ds_read_b128 v[8:11], v164 offset:208
	s_waitcnt lgkmcnt(1)
	v_fma_f64 v[20:21], v[12:13], -0.5, v[0:1]
	v_add_f64 v[12:13], v[30:31], v[34:35]
	v_fma_f64 v[22:23], v[12:13], -0.5, v[2:3]
	v_fma_f64 v[12:13], v[57:58], s[4:5], v[20:21]
	v_fma_f64 v[20:21], v[57:58], s[12:13], v[20:21]
	;; [unrolled: 1-line block ×10, first 2 shown]
	v_add_f64 v[20:21], v[24:25], v[36:37]
	v_fma_f64 v[14:15], v[18:19], s[16:17], v[14:15]
	v_fma_f64 v[18:19], v[18:19], s[16:17], v[22:23]
	v_add_f64 v[22:23], v[26:27], v[38:39]
	v_fma_f64 v[20:21], v[20:21], -0.5, v[0:1]
	v_add_f64 v[0:1], v[0:1], v[24:25]
	v_add_f64 v[24:25], v[28:29], -v[24:25]
	v_fma_f64 v[22:23], v[22:23], -0.5, v[2:3]
	v_add_f64 v[2:3], v[2:3], v[26:27]
	v_add_f64 v[26:27], v[30:31], -v[26:27]
	v_add_f64 v[0:1], v[0:1], v[28:29]
	v_fma_f64 v[28:29], v[59:60], s[12:13], v[20:21]
	v_fma_f64 v[20:21], v[59:60], s[4:5], v[20:21]
	v_add_f64 v[2:3], v[2:3], v[30:31]
	v_add_f64 v[30:31], v[32:33], -v[36:37]
	v_add_f64 v[0:1], v[0:1], v[32:33]
	v_add_f64 v[32:33], v[34:35], -v[38:39]
	v_fma_f64 v[28:29], v[57:58], s[0:1], v[28:29]
	v_add_f64 v[2:3], v[2:3], v[34:35]
	v_fma_f64 v[34:35], v[111:112], s[4:5], v[22:23]
	v_add_f64 v[24:25], v[24:25], v[30:31]
	v_fma_f64 v[30:31], v[57:58], s[2:3], v[20:21]
	v_fma_f64 v[22:23], v[111:112], s[12:13], v[22:23]
	v_add_f64 v[26:27], v[26:27], v[32:33]
	v_add_f64 v[0:1], v[0:1], v[36:37]
	v_add_f64 v[57:58], v[46:47], -v[51:52]
	v_add_f64 v[111:112], v[44:45], -v[49:50]
	v_add_f64 v[2:3], v[2:3], v[38:39]
	v_fma_f64 v[32:33], v[109:110], s[2:3], v[34:35]
	v_fma_f64 v[20:21], v[24:25], s[16:17], v[28:29]
	v_fma_f64 v[24:25], v[24:25], s[16:17], v[30:31]
	v_add_f64 v[28:29], v[40:41], -v[44:45]
	v_add_f64 v[30:31], v[53:54], -v[49:50]
	v_fma_f64 v[34:35], v[109:110], s[0:1], v[22:23]
	v_add_f64 v[38:39], v[42:43], -v[55:56]
	v_add_f64 v[109:110], v[40:41], -v[53:54]
	v_fma_f64 v[22:23], v[26:27], s[16:17], v[32:33]
	v_add_f64 v[32:33], v[28:29], v[30:31]
	v_add_f64 v[28:29], v[42:43], -v[46:47]
	v_add_f64 v[30:31], v[55:56], -v[51:52]
	v_fma_f64 v[26:27], v[26:27], s[16:17], v[34:35]
	v_add_f64 v[34:35], v[28:29], v[30:31]
	v_add_f64 v[28:29], v[44:45], v[49:50]
	;; [unrolled: 1-line block ×3, first 2 shown]
	s_waitcnt lgkmcnt(0)
	v_fma_f64 v[36:37], v[28:29], -0.5, v[8:9]
	v_fma_f64 v[59:60], v[30:31], -0.5, v[10:11]
	v_fma_f64 v[28:29], v[38:39], s[4:5], v[36:37]
	v_fma_f64 v[30:31], v[109:110], s[12:13], v[59:60]
	;; [unrolled: 1-line block ×12, first 2 shown]
	v_add_f64 v[36:37], v[40:41], v[53:54]
	v_add_f64 v[59:60], v[42:43], v[55:56]
	v_fma_f64 v[36:37], v[36:37], -0.5, v[8:9]
	v_fma_f64 v[59:60], v[59:60], -0.5, v[10:11]
	v_add_f64 v[8:9], v[8:9], v[40:41]
	v_add_f64 v[10:11], v[10:11], v[42:43]
	v_add_f64 v[40:41], v[44:45], -v[40:41]
	v_add_f64 v[42:43], v[46:47], -v[42:43]
	v_add_f64 v[8:9], v[8:9], v[44:45]
	v_fma_f64 v[44:45], v[57:58], s[12:13], v[36:37]
	v_fma_f64 v[36:37], v[57:58], s[4:5], v[36:37]
	v_add_f64 v[10:11], v[10:11], v[46:47]
	v_add_f64 v[46:47], v[49:50], -v[53:54]
	v_add_f64 v[8:9], v[8:9], v[49:50]
	v_fma_f64 v[44:45], v[38:39], s[0:1], v[44:45]
	v_add_f64 v[49:50], v[51:52], -v[55:56]
	v_add_f64 v[10:11], v[10:11], v[51:52]
	v_add_f64 v[40:41], v[40:41], v[46:47]
	v_fma_f64 v[46:47], v[38:39], s[2:3], v[36:37]
	v_fma_f64 v[51:52], v[111:112], s[4:5], v[59:60]
	v_add_f64 v[8:9], v[8:9], v[53:54]
	v_fma_f64 v[53:54], v[111:112], s[12:13], v[59:60]
	v_add_f64 v[42:43], v[42:43], v[49:50]
	v_add_f64 v[10:11], v[10:11], v[55:56]
	v_fma_f64 v[36:37], v[40:41], s[16:17], v[44:45]
	v_fma_f64 v[40:41], v[40:41], s[16:17], v[46:47]
	v_add_f64 v[44:45], v[61:62], -v[65:66]
	v_add_f64 v[46:47], v[73:74], -v[69:70]
	v_fma_f64 v[38:39], v[109:110], s[2:3], v[51:52]
	v_fma_f64 v[49:50], v[109:110], s[0:1], v[53:54]
	v_add_f64 v[53:54], v[65:66], v[69:70]
	v_add_f64 v[57:58], v[44:45], v[46:47]
	v_add_f64 v[44:45], v[63:64], -v[67:68]
	v_add_f64 v[46:47], v[75:76], -v[71:72]
	v_fma_f64 v[38:39], v[42:43], s[16:17], v[38:39]
	v_fma_f64 v[42:43], v[42:43], s[16:17], v[49:50]
	v_add_f64 v[59:60], v[44:45], v[46:47]
	ds_read_b128 v[44:47], v164 offset:416
	ds_read_b128 v[49:52], v164 offset:624
	s_waitcnt lgkmcnt(1)
	v_fma_f64 v[109:110], v[53:54], -0.5, v[44:45]
	v_add_f64 v[53:54], v[67:68], v[71:72]
	v_fma_f64 v[111:112], v[53:54], -0.5, v[46:47]
	v_fma_f64 v[53:54], v[113:114], s[4:5], v[109:110]
	v_fma_f64 v[109:110], v[113:114], s[12:13], v[109:110]
	;; [unrolled: 1-line block ×10, first 2 shown]
	v_add_f64 v[109:110], v[61:62], v[73:74]
	v_fma_f64 v[55:56], v[59:60], s[16:17], v[55:56]
	v_fma_f64 v[59:60], v[59:60], s[16:17], v[111:112]
	v_add_f64 v[111:112], v[63:64], v[75:76]
	v_fma_f64 v[109:110], v[109:110], -0.5, v[44:45]
	v_add_f64 v[44:45], v[44:45], v[61:62]
	v_add_f64 v[61:62], v[65:66], -v[61:62]
	v_fma_f64 v[111:112], v[111:112], -0.5, v[46:47]
	v_add_f64 v[46:47], v[46:47], v[63:64]
	v_add_f64 v[44:45], v[44:45], v[65:66]
	v_fma_f64 v[65:66], v[115:116], s[12:13], v[109:110]
	v_fma_f64 v[109:110], v[115:116], s[4:5], v[109:110]
	v_add_f64 v[63:64], v[67:68], -v[63:64]
	v_add_f64 v[115:116], v[83:84], -v[87:88]
	v_add_f64 v[46:47], v[46:47], v[67:68]
	v_add_f64 v[44:45], v[44:45], v[69:70]
	v_add_f64 v[67:68], v[69:70], -v[73:74]
	v_add_f64 v[69:70], v[71:72], -v[75:76]
	v_add_f64 v[46:47], v[46:47], v[71:72]
	v_add_f64 v[44:45], v[44:45], v[73:74]
	v_fma_f64 v[71:72], v[119:120], s[4:5], v[111:112]
	v_fma_f64 v[73:74], v[119:120], s[12:13], v[111:112]
	v_add_f64 v[67:68], v[61:62], v[67:68]
	v_fma_f64 v[61:62], v[113:114], s[0:1], v[65:66]
	v_fma_f64 v[65:66], v[113:114], s[2:3], v[109:110]
	v_add_f64 v[69:70], v[63:64], v[69:70]
	v_add_f64 v[113:114], v[79:80], -v[91:92]
	v_add_f64 v[119:120], v[81:82], -v[85:86]
	v_add_f64 v[46:47], v[46:47], v[75:76]
	v_fma_f64 v[63:64], v[117:118], s[2:3], v[71:72]
	v_fma_f64 v[71:72], v[117:118], s[0:1], v[73:74]
	v_add_f64 v[117:118], v[77:78], -v[89:90]
	v_fma_f64 v[61:62], v[67:68], s[16:17], v[61:62]
	v_fma_f64 v[65:66], v[67:68], s[16:17], v[65:66]
	;; [unrolled: 1-line block ×4, first 2 shown]
	v_add_f64 v[69:70], v[77:78], -v[81:82]
	v_add_f64 v[71:72], v[89:90], -v[85:86]
	v_add_f64 v[73:74], v[69:70], v[71:72]
	v_add_f64 v[69:70], v[79:80], -v[83:84]
	v_add_f64 v[71:72], v[91:92], -v[87:88]
	v_add_f64 v[75:76], v[69:70], v[71:72]
	v_add_f64 v[69:70], v[81:82], v[85:86]
	s_waitcnt lgkmcnt(0)
	v_fma_f64 v[109:110], v[69:70], -0.5, v[49:50]
	v_add_f64 v[69:70], v[83:84], v[87:88]
	v_fma_f64 v[111:112], v[69:70], -0.5, v[51:52]
	v_fma_f64 v[69:70], v[113:114], s[4:5], v[109:110]
	v_fma_f64 v[109:110], v[113:114], s[12:13], v[109:110]
	;; [unrolled: 1-line block ×10, first 2 shown]
	v_add_f64 v[109:110], v[77:78], v[89:90]
	v_fma_f64 v[71:72], v[75:76], s[16:17], v[71:72]
	v_fma_f64 v[75:76], v[75:76], s[16:17], v[111:112]
	v_add_f64 v[111:112], v[79:80], v[91:92]
	v_fma_f64 v[109:110], v[109:110], -0.5, v[49:50]
	v_add_f64 v[49:50], v[49:50], v[77:78]
	v_add_f64 v[77:78], v[81:82], -v[77:78]
	v_fma_f64 v[111:112], v[111:112], -0.5, v[51:52]
	v_add_f64 v[51:52], v[51:52], v[79:80]
	v_add_f64 v[49:50], v[49:50], v[81:82]
	v_fma_f64 v[81:82], v[115:116], s[12:13], v[109:110]
	v_fma_f64 v[109:110], v[115:116], s[4:5], v[109:110]
	v_add_f64 v[79:80], v[83:84], -v[79:80]
	v_add_f64 v[115:116], v[99:100], -v[103:104]
	v_add_f64 v[51:52], v[51:52], v[83:84]
	v_add_f64 v[49:50], v[49:50], v[85:86]
	v_add_f64 v[83:84], v[85:86], -v[89:90]
	v_add_f64 v[85:86], v[87:88], -v[91:92]
	v_add_f64 v[51:52], v[51:52], v[87:88]
	v_add_f64 v[49:50], v[49:50], v[89:90]
	v_fma_f64 v[87:88], v[119:120], s[4:5], v[111:112]
	v_fma_f64 v[89:90], v[119:120], s[12:13], v[111:112]
	v_add_f64 v[83:84], v[77:78], v[83:84]
	v_fma_f64 v[77:78], v[113:114], s[0:1], v[81:82]
	v_fma_f64 v[81:82], v[113:114], s[2:3], v[109:110]
	v_add_f64 v[85:86], v[79:80], v[85:86]
	v_add_f64 v[113:114], v[95:96], -v[107:108]
	v_add_f64 v[119:120], v[97:98], -v[101:102]
	v_add_f64 v[51:52], v[51:52], v[91:92]
	v_fma_f64 v[79:80], v[117:118], s[2:3], v[87:88]
	v_fma_f64 v[87:88], v[117:118], s[0:1], v[89:90]
	v_add_f64 v[117:118], v[93:94], -v[105:106]
	v_fma_f64 v[77:78], v[83:84], s[16:17], v[77:78]
	v_fma_f64 v[81:82], v[83:84], s[16:17], v[81:82]
	;; [unrolled: 1-line block ×4, first 2 shown]
	v_add_f64 v[85:86], v[93:94], -v[97:98]
	v_add_f64 v[87:88], v[105:106], -v[101:102]
	v_add_f64 v[89:90], v[85:86], v[87:88]
	v_add_f64 v[85:86], v[95:96], -v[99:100]
	v_add_f64 v[87:88], v[107:108], -v[103:104]
	v_add_f64 v[91:92], v[85:86], v[87:88]
	v_add_f64 v[85:86], v[97:98], v[101:102]
	v_fma_f64 v[109:110], v[85:86], -0.5, v[4:5]
	v_add_f64 v[85:86], v[99:100], v[103:104]
	v_fma_f64 v[111:112], v[85:86], -0.5, v[6:7]
	v_fma_f64 v[85:86], v[113:114], s[4:5], v[109:110]
	v_fma_f64 v[109:110], v[113:114], s[12:13], v[109:110]
	;; [unrolled: 1-line block ×10, first 2 shown]
	v_add_f64 v[109:110], v[93:94], v[105:106]
	v_fma_f64 v[87:88], v[91:92], s[16:17], v[87:88]
	v_fma_f64 v[91:92], v[91:92], s[16:17], v[111:112]
	v_add_f64 v[111:112], v[95:96], v[107:108]
	v_fma_f64 v[109:110], v[109:110], -0.5, v[4:5]
	v_add_f64 v[4:5], v[4:5], v[93:94]
	v_add_f64 v[93:94], v[97:98], -v[93:94]
	v_fma_f64 v[111:112], v[111:112], -0.5, v[6:7]
	v_add_f64 v[6:7], v[6:7], v[95:96]
	v_add_f64 v[4:5], v[4:5], v[97:98]
	v_fma_f64 v[97:98], v[115:116], s[12:13], v[109:110]
	v_fma_f64 v[109:110], v[115:116], s[4:5], v[109:110]
	v_add_f64 v[95:96], v[99:100], -v[95:96]
	v_add_f64 v[6:7], v[6:7], v[99:100]
	v_add_f64 v[4:5], v[4:5], v[101:102]
	v_add_f64 v[99:100], v[101:102], -v[105:106]
	v_add_f64 v[101:102], v[103:104], -v[107:108]
	v_add_f64 v[6:7], v[6:7], v[103:104]
	v_add_f64 v[4:5], v[4:5], v[105:106]
	v_fma_f64 v[103:104], v[119:120], s[4:5], v[111:112]
	v_fma_f64 v[105:106], v[119:120], s[12:13], v[111:112]
	v_add_f64 v[99:100], v[93:94], v[99:100]
	v_fma_f64 v[93:94], v[113:114], s[0:1], v[97:98]
	v_fma_f64 v[97:98], v[113:114], s[2:3], v[109:110]
	v_add_f64 v[101:102], v[95:96], v[101:102]
	s_mul_i32 s4, s8, 25
	v_add_f64 v[6:7], v[6:7], v[107:108]
	v_fma_f64 v[95:96], v[117:118], s[2:3], v[103:104]
	v_fma_f64 v[103:104], v[117:118], s[0:1], v[105:106]
	s_mov_b32 s2, 0x7f9b2ce6
	v_fma_f64 v[93:94], v[99:100], s[16:17], v[93:94]
	v_fma_f64 v[97:98], v[99:100], s[16:17], v[97:98]
	s_mov_b32 s3, 0x3f6934c6
	s_mul_hi_u32 s1, s8, 25
	v_fma_f64 v[95:96], v[101:102], s[16:17], v[95:96]
	v_fma_f64 v[99:100], v[101:102], s[16:17], v[103:104]
	ds_write_b128 v164, v[0:3]
	ds_write_b128 v166, v[12:15] offset:1040
	ds_write_b128 v166, v[20:23] offset:2080
	;; [unrolled: 1-line block ×24, first 2 shown]
	s_waitcnt lgkmcnt(0)
	s_barrier
	buffer_gl0_inv
	ds_read_b128 v[0:3], v164
	ds_read_b128 v[4:7], v164 offset:400
	ds_read_b128 v[8:11], v164 offset:800
	s_clause 0x5
	buffer_load_dword v32, off, s[48:51], 0 offset:64
	buffer_load_dword v33, off, s[48:51], 0 offset:68
	;; [unrolled: 1-line block ×6, first 2 shown]
	s_waitcnt vmcnt(2) lgkmcnt(2)
	v_mul_f64 v[16:17], v[34:35], v[2:3]
	v_mul_f64 v[18:19], v[34:35], v[0:1]
	s_clause 0x3
	buffer_load_dword v34, off, s[48:51], 0 offset:112
	buffer_load_dword v35, off, s[48:51], 0 offset:116
	buffer_load_dword v36, off, s[48:51], 0 offset:120
	buffer_load_dword v37, off, s[48:51], 0 offset:124
	s_waitcnt vmcnt(5)
	v_mov_b32_e32 v30, v12
	s_waitcnt vmcnt(4)
	ds_read_b128 v[12:15], v164 offset:1200
	v_mad_u64_u32 v[20:21], null, s10, v30, 0
	v_fma_f64 v[0:1], v[32:33], v[0:1], v[16:17]
	v_fma_f64 v[2:3], v[32:33], v[2:3], -v[18:19]
	v_mad_u64_u32 v[16:17], null, s8, v190, 0
	v_mad_u64_u32 v[17:18], null, s9, v190, v[17:18]
	s_waitcnt vmcnt(0) lgkmcnt(2)
	v_mul_f64 v[22:23], v[36:37], v[6:7]
	v_mul_f64 v[24:25], v[36:37], v[4:5]
	s_clause 0x3
	buffer_load_dword v36, off, s[48:51], 0 offset:128
	buffer_load_dword v37, off, s[48:51], 0 offset:132
	buffer_load_dword v38, off, s[48:51], 0 offset:136
	buffer_load_dword v39, off, s[48:51], 0 offset:140
	v_mad_u64_u32 v[30:31], null, s11, v30, v[21:22]
	v_fma_f64 v[22:23], v[34:35], v[4:5], v[22:23]
	v_fma_f64 v[24:25], v[34:35], v[6:7], -v[24:25]
	ds_read_b128 v[4:7], v164 offset:1600
	v_mov_b32_e32 v21, v30
	v_lshlrev_b64 v[18:19], 4, v[20:21]
	v_mul_f64 v[20:21], v[22:23], s[2:3]
	v_mul_f64 v[22:23], v[24:25], s[2:3]
	s_waitcnt vmcnt(0) lgkmcnt(2)
	v_mul_f64 v[26:27], v[38:39], v[10:11]
	v_mul_f64 v[28:29], v[38:39], v[8:9]
	s_clause 0x3
	buffer_load_dword v38, off, s[48:51], 0 offset:96
	buffer_load_dword v39, off, s[48:51], 0 offset:100
	;; [unrolled: 1-line block ×4, first 2 shown]
	v_fma_f64 v[26:27], v[36:37], v[8:9], v[26:27]
	v_fma_f64 v[28:29], v[36:37], v[10:11], -v[28:29]
	v_mul_f64 v[10:11], v[2:3], s[2:3]
	v_add_co_u32 v2, s0, s14, v18
	v_mul_f64 v[8:9], v[0:1], s[2:3]
	v_add_co_ci_u32_e64 v3, s0, s15, v19, s0
	v_lshlrev_b64 v[0:1], 4, v[16:17]
	ds_read_b128 v[16:19], v164 offset:2000
	s_mul_i32 s0, s9, 25
	s_add_i32 s5, s1, s0
	v_add_co_u32 v0, s0, v2, v0
	v_add_co_ci_u32_e64 v1, s0, v3, v1, s0
	s_lshl_b64 s[4:5], s[4:5], 4
	v_mul_f64 v[24:25], v[26:27], s[2:3]
	v_mul_f64 v[26:27], v[28:29], s[2:3]
	s_waitcnt vmcnt(0) lgkmcnt(2)
	v_mul_f64 v[30:31], v[40:41], v[14:15]
	v_mul_f64 v[32:33], v[40:41], v[12:13]
	s_clause 0x3
	buffer_load_dword v40, off, s[48:51], 0 offset:80
	buffer_load_dword v41, off, s[48:51], 0 offset:84
	;; [unrolled: 1-line block ×4, first 2 shown]
	v_fma_f64 v[28:29], v[38:39], v[12:13], v[30:31]
	v_fma_f64 v[30:31], v[38:39], v[14:15], -v[32:33]
	v_add_co_u32 v32, s0, v0, s4
	v_add_co_ci_u32_e64 v33, s0, s5, v1, s0
	ds_read_b128 v[12:15], v164 offset:2400
	s_clause 0x3
	buffer_load_dword v54, off, s[48:51], 0 offset:40
	buffer_load_dword v55, off, s[48:51], 0 offset:44
	;; [unrolled: 1-line block ×4, first 2 shown]
	global_store_dwordx4 v[0:1], v[8:11], off
	v_mul_f64 v[8:9], v[28:29], s[2:3]
	v_mul_f64 v[10:11], v[30:31], s[2:3]
	s_waitcnt vmcnt(4) lgkmcnt(2)
	v_mul_f64 v[34:35], v[42:43], v[6:7]
	v_mul_f64 v[36:37], v[42:43], v[4:5]
	v_fma_f64 v[38:39], v[40:41], v[4:5], v[34:35]
	v_add_co_u32 v34, s0, v32, s4
	v_add_co_ci_u32_e64 v35, s0, s5, v33, s0
	v_fma_f64 v[44:45], v[40:41], v[6:7], -v[36:37]
	ds_read_b128 v[4:7], v164 offset:2800
	global_store_dwordx4 v[32:33], v[20:23], off
	global_store_dwordx4 v[34:35], v[24:27], off
	s_clause 0x3
	buffer_load_dword v58, off, s[48:51], 0 offset:192
	buffer_load_dword v59, off, s[48:51], 0 offset:196
	;; [unrolled: 1-line block ×4, first 2 shown]
	v_add_co_u32 v52, s0, v34, s4
	ds_read_b128 v[20:23], v164 offset:3200
	ds_read_b128 v[24:27], v164 offset:3600
	;; [unrolled: 1-line block ×3, first 2 shown]
	v_add_co_ci_u32_e64 v53, s0, s5, v35, s0
	ds_read_b128 v[32:35], v164 offset:4400
	ds_read_b128 v[40:43], v164 offset:4800
	s_clause 0xf
	buffer_load_dword v78, off, s[48:51], 0 offset:176
	buffer_load_dword v79, off, s[48:51], 0 offset:180
	;; [unrolled: 1-line block ×16, first 2 shown]
	s_waitcnt vmcnt(20) lgkmcnt(7)
	v_mul_f64 v[46:47], v[56:57], v[18:19]
	v_mul_f64 v[48:49], v[56:57], v[16:17]
	;; [unrolled: 1-line block ×4, first 2 shown]
	v_fma_f64 v[16:17], v[54:55], v[16:17], v[46:47]
	v_fma_f64 v[18:19], v[54:55], v[18:19], -v[48:49]
	v_add_co_u32 v48, s0, v52, s4
	v_add_co_ci_u32_e64 v49, s0, s5, v53, s0
	s_waitcnt vmcnt(16) lgkmcnt(6)
	v_mul_f64 v[0:1], v[60:61], v[14:15]
	v_mul_f64 v[50:51], v[60:61], v[12:13]
	s_waitcnt vmcnt(12) lgkmcnt(5)
	v_mul_f64 v[44:45], v[80:81], v[6:7]
	v_mul_f64 v[46:47], v[80:81], v[4:5]
	s_clause 0x3
	buffer_load_dword v80, off, s[48:51], 0 offset:208
	buffer_load_dword v81, off, s[48:51], 0 offset:212
	;; [unrolled: 1-line block ×4, first 2 shown]
	s_waitcnt vmcnt(4) lgkmcnt(2)
	v_mul_f64 v[60:61], v[86:87], v[28:29]
	v_mul_f64 v[54:55], v[76:77], v[22:23]
	;; [unrolled: 1-line block ×3, first 2 shown]
	v_fma_f64 v[0:1], v[58:59], v[12:13], v[0:1]
	v_fma_f64 v[12:13], v[58:59], v[14:15], -v[50:51]
	v_mul_f64 v[58:59], v[86:87], v[30:31]
	s_clause 0x3
	buffer_load_dword v86, off, s[48:51], 0 offset:240
	buffer_load_dword v87, off, s[48:51], 0 offset:244
	;; [unrolled: 1-line block ×4, first 2 shown]
	v_mul_f64 v[14:15], v[72:73], v[26:27]
	v_mul_f64 v[50:51], v[72:73], v[24:25]
	global_store_dwordx4 v[52:53], v[8:11], off
	global_store_dwordx4 v[48:49], v[36:39], off
	v_mul_f64 v[8:9], v[16:17], s[2:3]
	v_mul_f64 v[10:11], v[18:19], s[2:3]
	v_fma_f64 v[16:17], v[78:79], v[4:5], v[44:45]
	v_fma_f64 v[18:19], v[78:79], v[6:7], -v[46:47]
	v_add_co_u32 v36, s0, v48, s4
	v_fma_f64 v[20:21], v[74:75], v[20:21], v[54:55]
	v_fma_f64 v[22:23], v[74:75], v[22:23], -v[56:57]
	v_add_co_ci_u32_e64 v37, s0, s5, v49, s0
	v_mul_f64 v[4:5], v[0:1], s[2:3]
	v_mul_f64 v[6:7], v[12:13], s[2:3]
	v_fma_f64 v[0:1], v[70:71], v[24:25], v[14:15]
	v_fma_f64 v[24:25], v[70:71], v[26:27], -v[50:51]
	v_fma_f64 v[26:27], v[84:85], v[28:29], v[58:59]
	v_fma_f64 v[28:29], v[84:85], v[30:31], -v[60:61]
	global_store_dwordx4 v[36:37], v[8:11], off
	v_mul_f64 v[12:13], v[16:17], s[2:3]
	v_mul_f64 v[14:15], v[18:19], s[2:3]
	;; [unrolled: 1-line block ×8, first 2 shown]
	s_waitcnt vmcnt(4) lgkmcnt(1)
	v_mul_f64 v[62:63], v[82:83], v[34:35]
	v_mul_f64 v[64:65], v[82:83], v[32:33]
	s_waitcnt vmcnt(0) lgkmcnt(0)
	v_mul_f64 v[66:67], v[88:89], v[42:43]
	v_mul_f64 v[68:69], v[88:89], v[40:41]
	v_fma_f64 v[30:31], v[80:81], v[32:33], v[62:63]
	v_fma_f64 v[32:33], v[80:81], v[34:35], -v[64:65]
	v_fma_f64 v[34:35], v[86:87], v[40:41], v[66:67]
	v_fma_f64 v[38:39], v[86:87], v[42:43], -v[68:69]
	v_add_co_u32 v40, s0, v36, s4
	v_add_co_ci_u32_e64 v41, s0, s5, v37, s0
	v_add_co_u32 v42, s0, v40, s4
	v_add_co_ci_u32_e64 v43, s0, s5, v41, s0
	v_mul_f64 v[28:29], v[30:31], s[2:3]
	v_add_co_u32 v44, s0, v42, s4
	v_add_co_ci_u32_e64 v45, s0, s5, v43, s0
	v_mul_f64 v[30:31], v[32:33], s[2:3]
	global_store_dwordx4 v[40:41], v[4:7], off
	global_store_dwordx4 v[42:43], v[12:15], off
	v_mul_f64 v[32:33], v[34:35], s[2:3]
	v_mul_f64 v[34:35], v[38:39], s[2:3]
	v_add_co_u32 v38, s0, v44, s4
	v_add_co_ci_u32_e64 v39, s0, s5, v45, s0
	v_add_co_u32 v8, s0, v38, s4
	v_add_co_ci_u32_e64 v9, s0, s5, v39, s0
	;; [unrolled: 2-line block ×4, first 2 shown]
	global_store_dwordx4 v[44:45], v[16:19], off
	global_store_dwordx4 v[38:39], v[20:23], off
	global_store_dwordx4 v[8:9], v[24:27], off
	global_store_dwordx4 v[4:5], v[28:31], off
	global_store_dwordx4 v[0:1], v[32:35], off
	s_and_b32 exec_lo, exec_lo, vcc_lo
	s_cbranch_execz .LBB0_15
; %bb.14:
	s_clause 0x1
	buffer_load_dword v18, off, s[48:51], 0 offset:16
	buffer_load_dword v19, off, s[48:51], 0 offset:20
	ds_read_b128 v[8:11], v166 offset:208
	v_mad_u64_u32 v[0:1], null, 0xffffee10, s8, v[0:1]
	s_mul_i32 s0, s9, 0xffffee10
	s_sub_i32 s0, s0, s8
	v_add_nc_u32_e32 v1, s0, v1
	s_waitcnt vmcnt(0)
	global_load_dwordx4 v[4:7], v[18:19], off offset:208
	s_waitcnt vmcnt(0) lgkmcnt(0)
	v_mul_f64 v[12:13], v[10:11], v[6:7]
	v_mul_f64 v[6:7], v[8:9], v[6:7]
	v_fma_f64 v[8:9], v[8:9], v[4:5], v[12:13]
	v_fma_f64 v[6:7], v[4:5], v[10:11], -v[6:7]
	v_mul_f64 v[4:5], v[8:9], s[2:3]
	v_mul_f64 v[6:7], v[6:7], s[2:3]
	global_store_dwordx4 v[0:1], v[4:7], off
	global_load_dwordx4 v[4:7], v[18:19], off offset:608
	ds_read_b128 v[8:11], v164 offset:608
	ds_read_b128 v[12:15], v164 offset:1008
	v_add_co_u32 v0, vcc_lo, v0, s4
	v_add_co_ci_u32_e32 v1, vcc_lo, s5, v1, vcc_lo
	s_waitcnt vmcnt(0) lgkmcnt(1)
	v_mul_f64 v[16:17], v[10:11], v[6:7]
	v_mul_f64 v[6:7], v[8:9], v[6:7]
	v_fma_f64 v[8:9], v[8:9], v[4:5], v[16:17]
	v_fma_f64 v[6:7], v[4:5], v[10:11], -v[6:7]
	v_mul_f64 v[4:5], v[8:9], s[2:3]
	v_mul_f64 v[6:7], v[6:7], s[2:3]
	global_store_dwordx4 v[0:1], v[4:7], off
	global_load_dwordx4 v[4:7], v[18:19], off offset:1008
	v_add_co_u32 v0, vcc_lo, v0, s4
	v_add_co_ci_u32_e32 v1, vcc_lo, s5, v1, vcc_lo
	s_waitcnt vmcnt(0) lgkmcnt(0)
	v_mul_f64 v[8:9], v[14:15], v[6:7]
	v_mul_f64 v[6:7], v[12:13], v[6:7]
	v_fma_f64 v[8:9], v[12:13], v[4:5], v[8:9]
	v_fma_f64 v[6:7], v[4:5], v[14:15], -v[6:7]
	v_mul_f64 v[4:5], v[8:9], s[2:3]
	v_mul_f64 v[6:7], v[6:7], s[2:3]
	global_store_dwordx4 v[0:1], v[4:7], off
	global_load_dwordx4 v[4:7], v[18:19], off offset:1408
	ds_read_b128 v[8:11], v164 offset:1408
	ds_read_b128 v[12:15], v164 offset:1808
	v_add_co_u32 v0, vcc_lo, v0, s4
	v_add_co_ci_u32_e32 v1, vcc_lo, s5, v1, vcc_lo
	s_waitcnt vmcnt(0) lgkmcnt(1)
	v_mul_f64 v[16:17], v[10:11], v[6:7]
	v_mul_f64 v[6:7], v[8:9], v[6:7]
	v_fma_f64 v[8:9], v[8:9], v[4:5], v[16:17]
	v_fma_f64 v[6:7], v[4:5], v[10:11], -v[6:7]
	v_mul_f64 v[4:5], v[8:9], s[2:3]
	v_mul_f64 v[6:7], v[6:7], s[2:3]
	global_store_dwordx4 v[0:1], v[4:7], off
	global_load_dwordx4 v[4:7], v[18:19], off offset:1808
	v_add_co_u32 v0, vcc_lo, v0, s4
	v_add_co_ci_u32_e32 v1, vcc_lo, s5, v1, vcc_lo
	s_waitcnt vmcnt(0) lgkmcnt(0)
	v_mul_f64 v[8:9], v[14:15], v[6:7]
	v_mul_f64 v[6:7], v[12:13], v[6:7]
	v_fma_f64 v[8:9], v[12:13], v[4:5], v[8:9]
	v_fma_f64 v[6:7], v[4:5], v[14:15], -v[6:7]
	v_mul_f64 v[4:5], v[8:9], s[2:3]
	v_mul_f64 v[6:7], v[6:7], s[2:3]
	global_store_dwordx4 v[0:1], v[4:7], off
	s_clause 0x1
	buffer_load_dword v18, off, s[48:51], 0 offset:24
	buffer_load_dword v19, off, s[48:51], 0 offset:28
	v_add_co_u32 v0, vcc_lo, v0, s4
	v_add_co_ci_u32_e32 v1, vcc_lo, s5, v1, vcc_lo
	s_waitcnt vmcnt(0)
	global_load_dwordx4 v[4:7], v[18:19], off offset:160
	ds_read_b128 v[8:11], v164 offset:2208
	ds_read_b128 v[12:15], v164 offset:2608
	s_waitcnt vmcnt(0) lgkmcnt(1)
	v_mul_f64 v[16:17], v[10:11], v[6:7]
	v_mul_f64 v[6:7], v[8:9], v[6:7]
	v_fma_f64 v[8:9], v[8:9], v[4:5], v[16:17]
	v_fma_f64 v[6:7], v[4:5], v[10:11], -v[6:7]
	v_mul_f64 v[4:5], v[8:9], s[2:3]
	v_mul_f64 v[6:7], v[6:7], s[2:3]
	global_store_dwordx4 v[0:1], v[4:7], off
	global_load_dwordx4 v[4:7], v[18:19], off offset:560
	v_add_co_u32 v0, vcc_lo, v0, s4
	v_add_co_ci_u32_e32 v1, vcc_lo, s5, v1, vcc_lo
	s_waitcnt vmcnt(0) lgkmcnt(0)
	v_mul_f64 v[8:9], v[14:15], v[6:7]
	v_mul_f64 v[6:7], v[12:13], v[6:7]
	v_fma_f64 v[8:9], v[12:13], v[4:5], v[8:9]
	v_fma_f64 v[6:7], v[4:5], v[14:15], -v[6:7]
	v_mul_f64 v[4:5], v[8:9], s[2:3]
	v_mul_f64 v[6:7], v[6:7], s[2:3]
	global_store_dwordx4 v[0:1], v[4:7], off
	global_load_dwordx4 v[4:7], v[18:19], off offset:960
	ds_read_b128 v[8:11], v164 offset:3008
	ds_read_b128 v[12:15], v164 offset:3408
	v_add_co_u32 v0, vcc_lo, v0, s4
	v_add_co_ci_u32_e32 v1, vcc_lo, s5, v1, vcc_lo
	s_waitcnt vmcnt(0) lgkmcnt(1)
	v_mul_f64 v[16:17], v[10:11], v[6:7]
	v_mul_f64 v[6:7], v[8:9], v[6:7]
	v_fma_f64 v[8:9], v[8:9], v[4:5], v[16:17]
	v_fma_f64 v[6:7], v[4:5], v[10:11], -v[6:7]
	v_mul_f64 v[4:5], v[8:9], s[2:3]
	v_mul_f64 v[6:7], v[6:7], s[2:3]
	global_store_dwordx4 v[0:1], v[4:7], off
	global_load_dwordx4 v[4:7], v[18:19], off offset:1360
	v_add_co_u32 v0, vcc_lo, v0, s4
	v_add_co_ci_u32_e32 v1, vcc_lo, s5, v1, vcc_lo
	s_waitcnt vmcnt(0) lgkmcnt(0)
	v_mul_f64 v[8:9], v[14:15], v[6:7]
	v_mul_f64 v[6:7], v[12:13], v[6:7]
	v_fma_f64 v[8:9], v[12:13], v[4:5], v[8:9]
	v_fma_f64 v[6:7], v[4:5], v[14:15], -v[6:7]
	v_mul_f64 v[4:5], v[8:9], s[2:3]
	v_mul_f64 v[6:7], v[6:7], s[2:3]
	global_store_dwordx4 v[0:1], v[4:7], off
	global_load_dwordx4 v[4:7], v[18:19], off offset:1760
	ds_read_b128 v[8:11], v164 offset:3808
	ds_read_b128 v[12:15], v164 offset:4208
	v_add_co_u32 v0, vcc_lo, v0, s4
	v_add_co_ci_u32_e32 v1, vcc_lo, s5, v1, vcc_lo
	s_waitcnt vmcnt(0) lgkmcnt(1)
	v_mul_f64 v[16:17], v[10:11], v[6:7]
	v_mul_f64 v[6:7], v[8:9], v[6:7]
	v_fma_f64 v[8:9], v[8:9], v[4:5], v[16:17]
	v_fma_f64 v[6:7], v[4:5], v[10:11], -v[6:7]
	v_add_co_u32 v16, vcc_lo, v0, s4
	v_add_co_ci_u32_e32 v17, vcc_lo, s5, v1, vcc_lo
	v_mul_f64 v[4:5], v[8:9], s[2:3]
	v_mul_f64 v[6:7], v[6:7], s[2:3]
	global_store_dwordx4 v[0:1], v[4:7], off
	s_clause 0x2
	buffer_load_dword v18, off, s[48:51], 0 offset:32
	buffer_load_dword v19, off, s[48:51], 0 offset:36
	;; [unrolled: 1-line block ×3, first 2 shown]
	s_waitcnt vmcnt(1)
	global_load_dwordx4 v[4:7], v[18:19], off offset:112
	s_waitcnt vmcnt(1)
	v_lshlrev_b32_e32 v0, 4, v20
	s_waitcnt vmcnt(0) lgkmcnt(0)
	v_mul_f64 v[8:9], v[14:15], v[6:7]
	v_mul_f64 v[6:7], v[12:13], v[6:7]
	v_fma_f64 v[8:9], v[12:13], v[4:5], v[8:9]
	v_fma_f64 v[6:7], v[4:5], v[14:15], -v[6:7]
	v_mul_f64 v[4:5], v[8:9], s[2:3]
	v_mul_f64 v[6:7], v[6:7], s[2:3]
	global_store_dwordx4 v[16:17], v[4:7], off
	global_load_dwordx4 v[4:7], v0, s[6:7]
	ds_read_b128 v[8:11], v164 offset:4608
	ds_read_b128 v[12:15], v164 offset:5008
	s_waitcnt vmcnt(0) lgkmcnt(1)
	v_mul_f64 v[0:1], v[10:11], v[6:7]
	v_mul_f64 v[6:7], v[8:9], v[6:7]
	v_fma_f64 v[0:1], v[8:9], v[4:5], v[0:1]
	v_fma_f64 v[6:7], v[4:5], v[10:11], -v[6:7]
	v_mad_u64_u32 v[8:9], null, s8, v20, 0
	v_mov_b32_e32 v4, v9
	v_mad_u64_u32 v[9:10], null, s9, v20, v[4:5]
	v_mul_f64 v[4:5], v[0:1], s[2:3]
	v_mul_f64 v[6:7], v[6:7], s[2:3]
	v_lshlrev_b64 v[0:1], 4, v[8:9]
	v_add_co_u32 v0, vcc_lo, v2, v0
	v_add_co_ci_u32_e32 v1, vcc_lo, v3, v1, vcc_lo
	global_store_dwordx4 v[0:1], v[4:7], off
	global_load_dwordx4 v[0:3], v[18:19], off offset:912
	v_mad_u64_u32 v[6:7], null, 0x320, s8, v[16:17]
	s_waitcnt vmcnt(0) lgkmcnt(0)
	v_mul_f64 v[4:5], v[14:15], v[2:3]
	v_mul_f64 v[2:3], v[12:13], v[2:3]
	v_fma_f64 v[4:5], v[12:13], v[0:1], v[4:5]
	v_fma_f64 v[2:3], v[0:1], v[14:15], -v[2:3]
	v_mul_f64 v[0:1], v[4:5], s[2:3]
	v_mul_f64 v[2:3], v[2:3], s[2:3]
	v_mov_b32_e32 v4, v7
	v_mad_u64_u32 v[4:5], null, 0x320, s9, v[4:5]
	v_mov_b32_e32 v7, v4
	global_store_dwordx4 v[6:7], v[0:3], off
.LBB0_15:
	s_endpgm
	.section	.rodata,"a",@progbits
	.p2align	6, 0x0
	.amdhsa_kernel bluestein_single_back_len325_dim1_dp_op_CI_CI
		.amdhsa_group_segment_fixed_size 20800
		.amdhsa_private_segment_fixed_size 756
		.amdhsa_kernarg_size 104
		.amdhsa_user_sgpr_count 6
		.amdhsa_user_sgpr_private_segment_buffer 1
		.amdhsa_user_sgpr_dispatch_ptr 0
		.amdhsa_user_sgpr_queue_ptr 0
		.amdhsa_user_sgpr_kernarg_segment_ptr 1
		.amdhsa_user_sgpr_dispatch_id 0
		.amdhsa_user_sgpr_flat_scratch_init 0
		.amdhsa_user_sgpr_private_segment_size 0
		.amdhsa_wavefront_size32 1
		.amdhsa_uses_dynamic_stack 0
		.amdhsa_system_sgpr_private_segment_wavefront_offset 1
		.amdhsa_system_sgpr_workgroup_id_x 1
		.amdhsa_system_sgpr_workgroup_id_y 0
		.amdhsa_system_sgpr_workgroup_id_z 0
		.amdhsa_system_sgpr_workgroup_info 0
		.amdhsa_system_vgpr_workitem_id 0
		.amdhsa_next_free_vgpr 256
		.amdhsa_next_free_sgpr 52
		.amdhsa_reserve_vcc 1
		.amdhsa_reserve_flat_scratch 0
		.amdhsa_float_round_mode_32 0
		.amdhsa_float_round_mode_16_64 0
		.amdhsa_float_denorm_mode_32 3
		.amdhsa_float_denorm_mode_16_64 3
		.amdhsa_dx10_clamp 1
		.amdhsa_ieee_mode 1
		.amdhsa_fp16_overflow 0
		.amdhsa_workgroup_processor_mode 1
		.amdhsa_memory_ordered 1
		.amdhsa_forward_progress 0
		.amdhsa_shared_vgpr_count 0
		.amdhsa_exception_fp_ieee_invalid_op 0
		.amdhsa_exception_fp_denorm_src 0
		.amdhsa_exception_fp_ieee_div_zero 0
		.amdhsa_exception_fp_ieee_overflow 0
		.amdhsa_exception_fp_ieee_underflow 0
		.amdhsa_exception_fp_ieee_inexact 0
		.amdhsa_exception_int_div_zero 0
	.end_amdhsa_kernel
	.text
.Lfunc_end0:
	.size	bluestein_single_back_len325_dim1_dp_op_CI_CI, .Lfunc_end0-bluestein_single_back_len325_dim1_dp_op_CI_CI
                                        ; -- End function
	.section	.AMDGPU.csdata,"",@progbits
; Kernel info:
; codeLenInByte = 38860
; NumSgprs: 54
; NumVgprs: 256
; ScratchSize: 756
; MemoryBound: 0
; FloatMode: 240
; IeeeMode: 1
; LDSByteSize: 20800 bytes/workgroup (compile time only)
; SGPRBlocks: 6
; VGPRBlocks: 31
; NumSGPRsForWavesPerEU: 54
; NumVGPRsForWavesPerEU: 256
; Occupancy: 3
; WaveLimiterHint : 1
; COMPUTE_PGM_RSRC2:SCRATCH_EN: 1
; COMPUTE_PGM_RSRC2:USER_SGPR: 6
; COMPUTE_PGM_RSRC2:TRAP_HANDLER: 0
; COMPUTE_PGM_RSRC2:TGID_X_EN: 1
; COMPUTE_PGM_RSRC2:TGID_Y_EN: 0
; COMPUTE_PGM_RSRC2:TGID_Z_EN: 0
; COMPUTE_PGM_RSRC2:TIDIG_COMP_CNT: 0
	.text
	.p2alignl 6, 3214868480
	.fill 48, 4, 3214868480
	.type	__hip_cuid_e952fadddadba3b2,@object ; @__hip_cuid_e952fadddadba3b2
	.section	.bss,"aw",@nobits
	.globl	__hip_cuid_e952fadddadba3b2
__hip_cuid_e952fadddadba3b2:
	.byte	0                               ; 0x0
	.size	__hip_cuid_e952fadddadba3b2, 1

	.ident	"AMD clang version 19.0.0git (https://github.com/RadeonOpenCompute/llvm-project roc-6.4.0 25133 c7fe45cf4b819c5991fe208aaa96edf142730f1d)"
	.section	".note.GNU-stack","",@progbits
	.addrsig
	.addrsig_sym __hip_cuid_e952fadddadba3b2
	.amdgpu_metadata
---
amdhsa.kernels:
  - .args:
      - .actual_access:  read_only
        .address_space:  global
        .offset:         0
        .size:           8
        .value_kind:     global_buffer
      - .actual_access:  read_only
        .address_space:  global
        .offset:         8
        .size:           8
        .value_kind:     global_buffer
      - .actual_access:  read_only
        .address_space:  global
        .offset:         16
        .size:           8
        .value_kind:     global_buffer
      - .actual_access:  read_only
        .address_space:  global
        .offset:         24
        .size:           8
        .value_kind:     global_buffer
      - .actual_access:  read_only
        .address_space:  global
        .offset:         32
        .size:           8
        .value_kind:     global_buffer
      - .offset:         40
        .size:           8
        .value_kind:     by_value
      - .address_space:  global
        .offset:         48
        .size:           8
        .value_kind:     global_buffer
      - .address_space:  global
        .offset:         56
        .size:           8
        .value_kind:     global_buffer
      - .address_space:  global
        .offset:         64
        .size:           8
        .value_kind:     global_buffer
      - .address_space:  global
        .offset:         72
        .size:           8
        .value_kind:     global_buffer
      - .offset:         80
        .size:           4
        .value_kind:     by_value
      - .address_space:  global
        .offset:         88
        .size:           8
        .value_kind:     global_buffer
      - .address_space:  global
        .offset:         96
        .size:           8
        .value_kind:     global_buffer
    .group_segment_fixed_size: 20800
    .kernarg_segment_align: 8
    .kernarg_segment_size: 104
    .language:       OpenCL C
    .language_version:
      - 2
      - 0
    .max_flat_workgroup_size: 52
    .name:           bluestein_single_back_len325_dim1_dp_op_CI_CI
    .private_segment_fixed_size: 756
    .sgpr_count:     54
    .sgpr_spill_count: 0
    .symbol:         bluestein_single_back_len325_dim1_dp_op_CI_CI.kd
    .uniform_work_group_size: 1
    .uses_dynamic_stack: false
    .vgpr_count:     256
    .vgpr_spill_count: 192
    .wavefront_size: 32
    .workgroup_processor_mode: 1
amdhsa.target:   amdgcn-amd-amdhsa--gfx1030
amdhsa.version:
  - 1
  - 2
...

	.end_amdgpu_metadata
